;; amdgpu-corpus repo=ROCm/aiter kind=harvested arch=n/a opt=n/a

/root/src/amdgpu-assembly/repos/ROCm__aiter/hsa/gfx942/fmoe_2stages/fmoe_stage1_bf16_pertokenFp8_blockscale_g1u1_144x128_pf2.co:	file format elf64-amdgpu

Disassembly of section .text:

0000000000002a00 <_ZN5aiter56fmoe_stage1_bf16_pertokenFp8_blockscale_g1u1_144x128_pf2E>:
	s_and_b32 s1, s1, 0xffff                                   // 000000002A00: 8601FF01 0000FFFF
	s_load_dwordx2 s[8:9], s[0:1], 0x0                         // 000000002A08: C0060200 00000000
	s_load_dwordx2 s[20:21], s[0:1], 0x10                      // 000000002A10: C0060500 00000010
	s_load_dwordx2 s[24:25], s[0:1], 0x20                      // 000000002A18: C0060600 00000020
	s_load_dwordx2 s[48:49], s[0:1], 0x30                      // 000000002A20: C0060C00 00000030
	s_load_dwordx2 s[28:29], s[0:1], 0x40                      // 000000002A28: C0060700 00000040
	s_load_dwordx2 s[32:33], s[0:1], 0x50                      // 000000002A30: C0060800 00000050
	s_load_dwordx2 s[36:37], s[0:1], 0x60                      // 000000002A38: C0060900 00000060
	s_load_dwordx2 s[12:13], s[0:1], 0x70                      // 000000002A40: C0060300 00000070
	s_load_dwordx2 s[44:45], s[0:1], 0x80                      // 000000002A48: C0060B00 00000080
	s_mov_b32 s89, 0                                           // 000000002A50: BED90080
	s_load_dword s64, s[0:1], 0x90                             // 000000002A54: C0021000 00000090
	s_load_dword s65, s[0:1], 0xa0                             // 000000002A5C: C0021040 000000A0
	s_load_dword s66, s[0:1], 0xb0                             // 000000002A64: C0021080 000000B0
	s_load_dword s67, s[0:1], 0xc0                             // 000000002A6C: C00210C0 000000C0
	s_load_dword s68, s[0:1], 0xd0                             // 000000002A74: C0021100 000000D0
	s_load_dword s69, s[0:1], 0xe0                             // 000000002A7C: C0021140 000000E0
	s_load_dword s71, s[0:1], 0xf0                             // 000000002A84: C00211C0 000000F0
	s_load_dword s72, s[0:1], 0x100                            // 000000002A8C: C0021200 00000100
	s_load_dword s74, s[0:1], 0x110                            // 000000002A94: C0021280 00000110
	s_load_dword s76, s[0:1], 0x120                            // 000000002A9C: C0021300 00000120
	s_load_dword s56, s[0:1], 0x130                            // 000000002AA4: C0020E00 00000130
	s_load_dword s88, s[0:1], 0x140                            // 000000002AAC: C0021600 00000140
	s_load_dword s89, s[0:1], 0x150                            // 000000002AB4: C0021640 00000150
	v_lshrrev_b32_e32 v1, 10, v0                               // 000000002ABC: 2002008A
	v_lshrrev_b32_e32 v2, 10, v1                               // 000000002AC0: 2004028A
	v_and_b32_e32 v2, 0x3ff, v2                                // 000000002AC4: 260404FF 000003FF
	v_and_b32_e32 v1, 0x3ff, v1                                // 000000002ACC: 260202FF 000003FF
	v_and_b32_e32 v0, 0x3ff, v0                                // 000000002AD4: 260000FF 000003FF
	v_lshrrev_b32_e32 v3, 6, v0                                // 000000002ADC: 20060086
	v_and_b32_e32 v0, 63, v0                                   // 000000002AE0: 260000BF
	s_mov_b32 s2, s2                                           // 000000002AE4: BE820002
	s_mov_b32 s3, s3                                           // 000000002AE8: BE830003
	s_mov_b32 s4, s4                                           // 000000002AEC: BE840004
	v_readfirstlane_b32 s7, v3                                 // 000000002AF0: 7E0E0503
	s_waitcnt lgkmcnt(0)                                       // 000000002AF4: BF8CC07F
	s_and_b32 s49, s49, 0xffff                                 // 000000002AF8: 8631FF31 0000FFFF
	s_load_dword s48, s[48:49], 0x0                            // 000000002B00: C0020C18 00000000
	s_and_b32 s45, s45, 0xffff                                 // 000000002B08: 862DFF2D 0000FFFF
	s_and_b32 s9, s9, 0xffff                                   // 000000002B10: 8609FF09 0000FFFF
	s_mul_i32 s60, s66, s68                                    // 000000002B18: 923C4442
	s_mul_i32 s61, s66, 4                                      // 000000002B1C: 923D8442
	s_mov_b32 s22, s60                                         // 000000002B20: BE96003C
	s_mov_b32 s26, -16                                         // 000000002B24: BE9A00D0
	s_mov_b32 s30, s61                                         // 000000002B28: BE9E003D
	s_mov_b32 s14, 0x240                                       // 000000002B2C: BE8E00FF 00000240
	s_mov_b32 s38, -16                                         // 000000002B34: BEA600D0
	s_mov_b32 s10, -16                                         // 000000002B38: BE8A00D0
	s_lshr_b32 s60, s64, 7                                     // 000000002B3C: 8F3C8740
	s_mul_i32 s61, s60, 4                                      // 000000002B40: 923D843C
	s_lshr_b32 s60, s65, 7                                     // 000000002B44: 8F3C8741
	s_add_u32 s60, s60, 1                                      // 000000002B48: 803C813C
	s_mul_i32 s60, s60, s61                                    // 000000002B4C: 923C3D3C
	s_mov_b32 s34, s60                                         // 000000002B50: BEA2003C
	s_mov_b32 s23, 0x20000                                     // 000000002B54: BE9700FF 00020000
	s_mov_b32 s27, 0x20000                                     // 000000002B5C: BE9B00FF 00020000
	s_mov_b32 s31, 0x20000                                     // 000000002B64: BE9F00FF 00020000
	s_mov_b32 s35, 0x20000                                     // 000000002B6C: BEA300FF 00020000
	s_mov_b32 s15, 0x20000                                     // 000000002B74: BE8F00FF 00020000
	s_mov_b32 s39, 0x20000                                     // 000000002B7C: BEA700FF 00020000
	s_mov_b32 s11, 0x20000                                     // 000000002B84: BE8B00FF 00020000
	s_and_b32 s21, s21, 0xffff                                 // 000000002B8C: 8615FF15 0000FFFF
	s_and_b32 s25, s25, 0xffff                                 // 000000002B94: 8619FF19 0000FFFF
	s_and_b32 s29, s29, 0xffff                                 // 000000002B9C: 861DFF1D 0000FFFF
	s_and_b32 s33, s33, 0xffff                                 // 000000002BA4: 8621FF21 0000FFFF
	s_and_b32 s13, s13, 0xffff                                 // 000000002BAC: 860DFF0D 0000FFFF
	s_and_b32 s37, s37, 0xffff                                 // 000000002BB4: 8625FF25 0000FFFF
	s_or_b32 s21, s21, 0x40000                                 // 000000002BBC: 8715FF15 00040000
	s_or_b32 s25, s25, 0x40000                                 // 000000002BC4: 8719FF19 00040000
	s_or_b32 s29, s29, 0x40000                                 // 000000002BCC: 871DFF1D 00040000
	s_or_b32 s33, s33, 0x40000                                 // 000000002BD4: 8721FF21 00040000
	s_or_b32 s13, s13, 0x40000                                 // 000000002BDC: 870DFF0D 00040000
	s_or_b32 s37, s37, 0x40000                                 // 000000002BE4: 8725FF25 00040000
	v_accvgpr_write_b32 a175, 0                                // 000000002BEC: D3D940AF 18000080
	v_mov_b32_e32 v227, 0                                      // 000000002BF4: 7FC60280
	s_waitcnt lgkmcnt(0)                                       // 000000002BF8: BF8CC07F
	s_mul_i32 s60, s3, 0x90                                    // 000000002BFC: 923CFF03 00000090
	s_cmp_lt_i32 s60, s48                                      // 000000002C04: BF04303C
	s_cbranch_scc0 label_3AC8                                  // 000000002C08: BF843A42
	s_mov_b32 s80, 0                                           // 000000002C0C: BED00080
	s_lshr_b32 s81, s64, s88                                   // 000000002C10: 8F515840
	s_mul_i32 s60, s3, 4                                       // 000000002C14: 923C8403
	s_add_u32 s44, s60, s44                                    // 000000002C18: 802C2C3C
	s_addc_u32 s45, 0, s45                                     // 000000002C1C: 822D2D80
	s_load_dword s5, s[44:45], 0x0                             // 000000002C20: C0020156 00000000
	s_mul_i32 s60, s3, 0x90                                    // 000000002C28: 923CFF03 00000090
	s_mul_i32 s60, 4, s60                                      // 000000002C30: 923C3C84
	s_add_u32 s12, s60, s12                                    // 000000002C34: 800C0C3C
	s_addc_u32 s13, 0, s13                                     // 000000002C38: 820D0D80
	v_and_b32_e32 v4, 15, v0                                   // 000000002C3C: 2608008F
	v_lshlrev_b32_e32 v4, 2, v4                                // 000000002C40: 24080882
	buffer_load_dword v28, v4, s[12:15], 0 offen               // 000000002C44: E0501000 80031C04
	v_add_u32_e32 v4, 64, v4                                   // 000000002C4C: 680808C0
	buffer_load_dword v29, v4, s[12:15], 0 offen               // 000000002C50: E0501000 80031D04
	v_add_u32_e32 v4, 64, v4                                   // 000000002C58: 680808C0
	buffer_load_dword v30, v4, s[12:15], 0 offen               // 000000002C5C: E0501000 80031E04
	v_add_u32_e32 v4, 64, v4                                   // 000000002C64: 680808C0
	buffer_load_dword v31, v4, s[12:15], 0 offen               // 000000002C68: E0501000 80031F04
	v_add_u32_e32 v4, 64, v4                                   // 000000002C70: 680808C0
	buffer_load_dword v32, v4, s[12:15], 0 offen               // 000000002C74: E0501000 80032004
	v_add_u32_e32 v4, 64, v4                                   // 000000002C7C: 680808C0
	buffer_load_dword v33, v4, s[12:15], 0 offen               // 000000002C80: E0501000 80032104
	v_add_u32_e32 v4, 64, v4                                   // 000000002C88: 680808C0
	buffer_load_dword v34, v4, s[12:15], 0 offen               // 000000002C8C: E0501000 80032204
	v_add_u32_e32 v4, 64, v4                                   // 000000002C94: 680808C0
	buffer_load_dword v35, v4, s[12:15], 0 offen               // 000000002C98: E0501000 80032304
	v_add_u32_e32 v4, 64, v4                                   // 000000002CA0: 680808C0
	buffer_load_dword v36, v4, s[12:15], 0 offen               // 000000002CA4: E0501000 80032404
	v_add_u32_e32 v4, 64, v4                                   // 000000002CAC: 680808C0
	s_mul_i32 s60, 4, s7                                       // 000000002CB0: 923C0784
	v_lshlrev_b32_e32 v4, 4, v0                                // 000000002CB4: 24080084
	v_add_u32_e32 v4, s60, v4                                  // 000000002CB8: 6808083C
	buffer_load_dword v3, v4, s[12:15], 0 offen                // 000000002CBC: E0501000 80030304
	v_mov_b32_e32 v84, 0                                       // 000000002CC4: 7EA80280
	v_mov_b32_e32 v156, 0                                      // 000000002CC8: 7F380280
	v_mov_b32_e32 v85, 0                                       // 000000002CCC: 7EAA0280
	v_mov_b32_e32 v157, 0                                      // 000000002CD0: 7F3A0280
	v_mov_b32_e32 v86, 0                                       // 000000002CD4: 7EAC0280
	v_mov_b32_e32 v158, 0                                      // 000000002CD8: 7F3C0280
	v_mov_b32_e32 v87, 0                                       // 000000002CDC: 7EAE0280
	v_mov_b32_e32 v159, 0                                      // 000000002CE0: 7F3E0280
	v_mov_b32_e32 v88, 0                                       // 000000002CE4: 7EB00280
	v_mov_b32_e32 v160, 0                                      // 000000002CE8: 7F400280
	v_mov_b32_e32 v89, 0                                       // 000000002CEC: 7EB20280
	v_mov_b32_e32 v161, 0                                      // 000000002CF0: 7F420280
	v_mov_b32_e32 v90, 0                                       // 000000002CF4: 7EB40280
	v_mov_b32_e32 v162, 0                                      // 000000002CF8: 7F440280
	v_mov_b32_e32 v91, 0                                       // 000000002CFC: 7EB60280
	v_mov_b32_e32 v163, 0                                      // 000000002D00: 7F460280
	v_mov_b32_e32 v92, 0                                       // 000000002D04: 7EB80280
	v_mov_b32_e32 v164, 0                                      // 000000002D08: 7F480280
	v_mov_b32_e32 v93, 0                                       // 000000002D0C: 7EBA0280
	v_mov_b32_e32 v165, 0                                      // 000000002D10: 7F4A0280
	v_mov_b32_e32 v94, 0                                       // 000000002D14: 7EBC0280
	v_mov_b32_e32 v166, 0                                      // 000000002D18: 7F4C0280
	v_mov_b32_e32 v95, 0                                       // 000000002D1C: 7EBE0280
	v_mov_b32_e32 v167, 0                                      // 000000002D20: 7F4E0280
	v_mov_b32_e32 v96, 0                                       // 000000002D24: 7EC00280
	v_mov_b32_e32 v168, 0                                      // 000000002D28: 7F500280
	v_mov_b32_e32 v97, 0                                       // 000000002D2C: 7EC20280
	v_mov_b32_e32 v169, 0                                      // 000000002D30: 7F520280
	v_mov_b32_e32 v98, 0                                       // 000000002D34: 7EC40280
	v_mov_b32_e32 v170, 0                                      // 000000002D38: 7F540280
	v_mov_b32_e32 v99, 0                                       // 000000002D3C: 7EC60280
	v_mov_b32_e32 v171, 0                                      // 000000002D40: 7F560280
	v_mov_b32_e32 v100, 0                                      // 000000002D44: 7EC80280
	v_mov_b32_e32 v172, 0                                      // 000000002D48: 7F580280
	v_mov_b32_e32 v101, 0                                      // 000000002D4C: 7ECA0280
	v_mov_b32_e32 v173, 0                                      // 000000002D50: 7F5A0280
	v_mov_b32_e32 v102, 0                                      // 000000002D54: 7ECC0280
	v_mov_b32_e32 v174, 0                                      // 000000002D58: 7F5C0280
	v_mov_b32_e32 v103, 0                                      // 000000002D5C: 7ECE0280
	v_mov_b32_e32 v175, 0                                      // 000000002D60: 7F5E0280
	v_mov_b32_e32 v104, 0                                      // 000000002D64: 7ED00280
	v_mov_b32_e32 v176, 0                                      // 000000002D68: 7F600280
	v_mov_b32_e32 v105, 0                                      // 000000002D6C: 7ED20280
	v_mov_b32_e32 v177, 0                                      // 000000002D70: 7F620280
	v_mov_b32_e32 v106, 0                                      // 000000002D74: 7ED40280
	v_mov_b32_e32 v178, 0                                      // 000000002D78: 7F640280
	v_mov_b32_e32 v107, 0                                      // 000000002D7C: 7ED60280
	v_mov_b32_e32 v179, 0                                      // 000000002D80: 7F660280
	v_mov_b32_e32 v108, 0                                      // 000000002D84: 7ED80280
	v_mov_b32_e32 v180, 0                                      // 000000002D88: 7F680280
	v_mov_b32_e32 v109, 0                                      // 000000002D8C: 7EDA0280
	v_mov_b32_e32 v181, 0                                      // 000000002D90: 7F6A0280
	v_mov_b32_e32 v110, 0                                      // 000000002D94: 7EDC0280
	v_mov_b32_e32 v182, 0                                      // 000000002D98: 7F6C0280
	v_mov_b32_e32 v111, 0                                      // 000000002D9C: 7EDE0280
	v_mov_b32_e32 v183, 0                                      // 000000002DA0: 7F6E0280
	v_mov_b32_e32 v112, 0                                      // 000000002DA4: 7EE00280
	v_mov_b32_e32 v184, 0                                      // 000000002DA8: 7F700280
	v_mov_b32_e32 v113, 0                                      // 000000002DAC: 7EE20280
	v_mov_b32_e32 v185, 0                                      // 000000002DB0: 7F720280
	v_mov_b32_e32 v114, 0                                      // 000000002DB4: 7EE40280
	v_mov_b32_e32 v186, 0                                      // 000000002DB8: 7F740280
	v_mov_b32_e32 v115, 0                                      // 000000002DBC: 7EE60280
	v_mov_b32_e32 v187, 0                                      // 000000002DC0: 7F760280
	v_mov_b32_e32 v116, 0                                      // 000000002DC4: 7EE80280
	v_mov_b32_e32 v188, 0                                      // 000000002DC8: 7F780280
	v_mov_b32_e32 v117, 0                                      // 000000002DCC: 7EEA0280
	v_mov_b32_e32 v189, 0                                      // 000000002DD0: 7F7A0280
	v_mov_b32_e32 v118, 0                                      // 000000002DD4: 7EEC0280
	v_mov_b32_e32 v190, 0                                      // 000000002DD8: 7F7C0280
	v_mov_b32_e32 v119, 0                                      // 000000002DDC: 7EEE0280
	v_mov_b32_e32 v191, 0                                      // 000000002DE0: 7F7E0280
	v_mov_b32_e32 v120, 0                                      // 000000002DE4: 7EF00280
	v_mov_b32_e32 v192, 0                                      // 000000002DE8: 7F800280
	v_mov_b32_e32 v121, 0                                      // 000000002DEC: 7EF20280
	v_mov_b32_e32 v193, 0                                      // 000000002DF0: 7F820280
	v_mov_b32_e32 v122, 0                                      // 000000002DF4: 7EF40280
	v_mov_b32_e32 v194, 0                                      // 000000002DF8: 7F840280
	v_mov_b32_e32 v123, 0                                      // 000000002DFC: 7EF60280
	v_mov_b32_e32 v195, 0                                      // 000000002E00: 7F860280
	v_mov_b32_e32 v124, 0                                      // 000000002E04: 7EF80280
	v_mov_b32_e32 v196, 0                                      // 000000002E08: 7F880280
	v_mov_b32_e32 v125, 0                                      // 000000002E0C: 7EFA0280
	v_mov_b32_e32 v197, 0                                      // 000000002E10: 7F8A0280
	v_mov_b32_e32 v126, 0                                      // 000000002E14: 7EFC0280
	v_mov_b32_e32 v198, 0                                      // 000000002E18: 7F8C0280
	v_mov_b32_e32 v127, 0                                      // 000000002E1C: 7EFE0280
	v_mov_b32_e32 v199, 0                                      // 000000002E20: 7F8E0280
	v_mov_b32_e32 v128, 0                                      // 000000002E24: 7F000280
	v_mov_b32_e32 v200, 0                                      // 000000002E28: 7F900280
	v_mov_b32_e32 v129, 0                                      // 000000002E2C: 7F020280
	v_mov_b32_e32 v201, 0                                      // 000000002E30: 7F920280
	v_mov_b32_e32 v130, 0                                      // 000000002E34: 7F040280
	v_mov_b32_e32 v202, 0                                      // 000000002E38: 7F940280
	v_mov_b32_e32 v131, 0                                      // 000000002E3C: 7F060280
	v_mov_b32_e32 v203, 0                                      // 000000002E40: 7F960280
	v_mov_b32_e32 v132, 0                                      // 000000002E44: 7F080280
	v_mov_b32_e32 v204, 0                                      // 000000002E48: 7F980280
	v_mov_b32_e32 v133, 0                                      // 000000002E4C: 7F0A0280
	v_mov_b32_e32 v205, 0                                      // 000000002E50: 7F9A0280
	v_mov_b32_e32 v134, 0                                      // 000000002E54: 7F0C0280
	v_mov_b32_e32 v206, 0                                      // 000000002E58: 7F9C0280
	v_mov_b32_e32 v135, 0                                      // 000000002E5C: 7F0E0280
	v_mov_b32_e32 v207, 0                                      // 000000002E60: 7F9E0280
	v_mov_b32_e32 v136, 0                                      // 000000002E64: 7F100280
	v_mov_b32_e32 v208, 0                                      // 000000002E68: 7FA00280
	v_mov_b32_e32 v137, 0                                      // 000000002E6C: 7F120280
	v_mov_b32_e32 v209, 0                                      // 000000002E70: 7FA20280
	v_mov_b32_e32 v138, 0                                      // 000000002E74: 7F140280
	v_mov_b32_e32 v210, 0                                      // 000000002E78: 7FA40280
	v_mov_b32_e32 v139, 0                                      // 000000002E7C: 7F160280
	v_mov_b32_e32 v211, 0                                      // 000000002E80: 7FA60280
	v_mov_b32_e32 v140, 0                                      // 000000002E84: 7F180280
	v_mov_b32_e32 v212, 0                                      // 000000002E88: 7FA80280
	v_mov_b32_e32 v141, 0                                      // 000000002E8C: 7F1A0280
	v_mov_b32_e32 v213, 0                                      // 000000002E90: 7FAA0280
	v_mov_b32_e32 v142, 0                                      // 000000002E94: 7F1C0280
	v_mov_b32_e32 v214, 0                                      // 000000002E98: 7FAC0280
	v_mov_b32_e32 v143, 0                                      // 000000002E9C: 7F1E0280
	v_mov_b32_e32 v215, 0                                      // 000000002EA0: 7FAE0280
	v_mov_b32_e32 v144, 0                                      // 000000002EA4: 7F200280
	v_mov_b32_e32 v216, 0                                      // 000000002EA8: 7FB00280
	v_mov_b32_e32 v145, 0                                      // 000000002EAC: 7F220280
	v_mov_b32_e32 v217, 0                                      // 000000002EB0: 7FB20280
	v_mov_b32_e32 v146, 0                                      // 000000002EB4: 7F240280
	v_mov_b32_e32 v218, 0                                      // 000000002EB8: 7FB40280
	v_mov_b32_e32 v147, 0                                      // 000000002EBC: 7F260280
	v_mov_b32_e32 v219, 0                                      // 000000002EC0: 7FB60280
	v_mov_b32_e32 v148, 0                                      // 000000002EC4: 7F280280
	v_mov_b32_e32 v220, 0                                      // 000000002EC8: 7FB80280
	v_mov_b32_e32 v149, 0                                      // 000000002ECC: 7F2A0280
	v_mov_b32_e32 v221, 0                                      // 000000002ED0: 7FBA0280
	v_mov_b32_e32 v150, 0                                      // 000000002ED4: 7F2C0280
	v_mov_b32_e32 v222, 0                                      // 000000002ED8: 7FBC0280
	v_mov_b32_e32 v151, 0                                      // 000000002EDC: 7F2E0280
	v_mov_b32_e32 v223, 0                                      // 000000002EE0: 7FBE0280
	v_mov_b32_e32 v152, 0                                      // 000000002EE4: 7F300280
	v_mov_b32_e32 v224, 0                                      // 000000002EE8: 7FC00280
	v_mov_b32_e32 v153, 0                                      // 000000002EEC: 7F320280
	v_mov_b32_e32 v225, 0                                      // 000000002EF0: 7FC20280
	v_mov_b32_e32 v154, 0                                      // 000000002EF4: 7F340280
	v_mov_b32_e32 v226, 0                                      // 000000002EF8: 7FC40280
	v_mov_b32_e32 v155, 0                                      // 000000002EFC: 7F360280
	v_mov_b32_e32 v227, 0                                      // 000000002F00: 7FC60280
	s_mul_i32 s60, s2, 0x80                                    // 000000002F04: 923CFF02 00000080
	s_cmp_eq_u32 s88, 0                                        // 000000002F0C: BF068058
	s_cselect_b32 s61, 1, 4                                    // 000000002F10: 853D8481
	s_mul_i32 s60, s60, s61                                    // 000000002F14: 923C3D3C
	s_mov_b32 s90, s8                                          // 000000002F18: BEDA0008
	s_mov_b32 s91, s9                                          // 000000002F1C: BEDB0009
	s_add_u32 s8, s60, s8                                      // 000000002F20: 8008083C
	s_addc_u32 s9, 0, s9                                       // 000000002F24: 82090980
	v_lshrrev_b32_e32 v4, 4, v0                                // 000000002F28: 20080084
	v_mul_lo_u32 v20, 34, v4                                   // 000000002F2C: D2850014 000208A2
	v_and_b32_e32 v4, 15, v0                                   // 000000002F34: 2608008F
	v_mul_lo_u32 v5, 2, v4                                     // 000000002F38: D2850005 00020882
	v_add_u32_e32 v20, v5, v20                                 // 000000002F40: 68282905
	s_mul_i32 s60, s7, 0x88                                    // 000000002F44: 923CFF07 00000088
	v_add_u32_e32 v20, s60, v20                                // 000000002F4C: 6828283C
	v_lshlrev_b32_e32 v20, 2, v20                              // 000000002F50: 24282882
	v_and_b32_e32 v4, 31, v0                                   // 000000002F54: 2608009F
	v_lshrrev_b32_e32 v4, 1, v4                                // 000000002F58: 20080881
	v_mul_lo_u32 v21, 34, v4                                   // 000000002F5C: D2850015 000208A2
	v_lshrrev_b32_e32 v4, 5, v0                                // 000000002F64: 20080085
	v_mul_lo_u32 v4, 8, v4                                     // 000000002F68: D2850004 00020888
	v_add_u32_e32 v21, v21, v4                                 // 000000002F70: 682A0915
	v_and_b32_e32 v5, 1, v0                                    // 000000002F74: 260A0081
	v_add_u32_e32 v21, v5, v21                                 // 000000002F78: 682A2B05
	s_mul_i32 s60, s7, 2                                       // 000000002F7C: 923C8207
	v_add_u32_e32 v21, s60, v21                                // 000000002F80: 682A2A3C
	v_lshlrev_b32_e32 v21, 2, v21                              // 000000002F84: 242A2A82
	s_mul_i32 s60, s7, 0x1220                                  // 000000002F88: 923CFF07 00001220
	s_add_u32 s48, 0, s60                                      // 000000002F90: 80303C80
	s_add_u32 s49, 0x4880, s48                                 // 000000002F94: 803130FF 00004880
	v_lshrrev_b32_e32 v4, 4, v0                                // 000000002F9C: 20080084
	v_lshlrev_b32_e32 v5, 2, v4                                // 000000002FA0: 240A0882
	v_and_b32_e32 v4, 15, v0                                   // 000000002FA4: 2608008F
	v_lshrrev_b32_e32 v6, 2, v4                                // 000000002FA8: 200C0882
	v_lshlrev_b32_e32 v6, 5, v6                                // 000000002FAC: 240C0C85
	v_add_u32_e32 v5, v6, v5                                   // 000000002FB0: 680A0B06
	v_and_b32_e32 v4, 3, v0                                    // 000000002FB4: 26080083
	v_mul_u32_u24_e32 v6, 0x488, v4                            // 000000002FB8: 100C08FF 00000488
	v_add_u32_e32 v5, v6, v5                                   // 000000002FC0: 680A0B06
	v_lshlrev_b32_e32 v2, 2, v5                                // 000000002FC4: 24040A82
	s_waitcnt lgkmcnt(0)                                       // 000000002FC8: BF8CC07F
	s_mul_i32 s60, s2, 0x80                                    // 000000002FCC: 923CFF02 00000080
	s_mul_i32 s60, s60, s69                                    // 000000002FD4: 923C453C
	s_mul_i32 s61, s5, s72                                     // 000000002FD8: 923D4805
	s_add_u32 s60, s61, s60                                    // 000000002FDC: 803C3C3D
	s_add_u32 s24, s60, s24                                    // 000000002FE0: 8018183C
	s_addc_u32 s25, 0, s25                                     // 000000002FE4: 82191980
	s_lshr_b32 s60, s64, s88                                   // 000000002FE8: 8F3C5840
	s_mul_i32 s60, s4, s60                                     // 000000002FEC: 923C3C04
	s_lshr_b32 s60, s60, 7                                     // 000000002FF0: 8F3C873C
	s_mul_i32 s60, s60, 0x800                                  // 000000002FF4: 923CFF3C 00000800
	s_add_u32 s24, s60, s24                                    // 000000002FFC: 8018183C
	s_addc_u32 s25, 0, s25                                     // 000000003000: 82191980
	s_lshr_b32 s60, s69, s88                                   // 000000003004: 8F3C5845
	s_mul_i32 s60, s4, s60                                     // 000000003008: 923C3C04
	s_add_u32 s20, s60, s20                                    // 00000000300C: 8014143C
	s_addc_u32 s21, 0, s21                                     // 000000003010: 82151580
	s_mul_i32 s60, s7, 16                                      // 000000003014: 923C9007
	s_mul_i32 s60, s60, s69                                    // 000000003018: 923C453C
	v_lshlrev_b32_e32 v82, 4, v0                               // 00000000301C: 24A40084
	v_add_u32_e32 v82, s60, v82                                // 000000003020: 68A4A43C
	s_mul_i32 s60, 64, s69                                     // 000000003024: 923C45C0
	v_add_u32_e32 v83, s60, v82                                // 000000003028: 68A6A43C
	s_mov_b32 s84, s24                                         // 00000000302C: BED40018
	s_mov_b32 s85, s25                                         // 000000003030: BED50019
	s_mov_b32 s86, s26                                         // 000000003034: BED6001A
	s_mov_b32 s87, s27                                         // 000000003038: BED7001B
	s_mul_i32 s60, s69, s65                                    // 00000000303C: 923C4145
	s_add_u32 s84, s60, s84                                    // 000000003040: 8054543C
	s_addc_u32 s85, 0, s85                                     // 000000003044: 82555580
	s_lshr_b32 s60, s64, 7                                     // 000000003048: 8F3C8740
	s_mul_i32 s61, s60, 4                                      // 00000000304C: 923D843C
	v_and_b32_e32 v22, 15, v0                                  // 000000003050: 262C008F
	v_mul_lo_u32 v22, v22, s61                                 // 000000003054: D2850016 00007B16
	s_lshr_b32 s60, s65, 7                                     // 00000000305C: 8F3C8741
	s_mul_i32 s60, s60, s61                                    // 000000003060: 923C3D3C
	v_add_u32_e64 v23, v22, s60                                // 000000003064: D1340017 00007916
	s_mul_i32 s60, s2, 1                                       // 00000000306C: 923C8102
	s_mul_i32 s60, s60, s61                                    // 000000003070: 923C3D3C
	s_mul_i32 s61, s5, s74                                     // 000000003074: 923D4A05
	s_add_u32 s61, s61, s60                                    // 000000003078: 803D3C3D
	s_add_u32 s32, s61, s32                                    // 00000000307C: 8020203D
	s_addc_u32 s33, 0, s33                                     // 000000003080: 82212180
	s_lshr_b32 s60, s64, 7                                     // 000000003084: 8F3C8740
	s_lshr_b32 s60, s60, s88                                   // 000000003088: 8F3C583C
	s_mul_i32 s60, s4, s60                                     // 00000000308C: 923C3C04
	s_mul_i32 s61, s60, 4                                      // 000000003090: 923D843C
	s_add_u32 s32, s61, s32                                    // 000000003094: 8020203D
	s_addc_u32 s33, 0, s33                                     // 000000003098: 82212180
	s_lshl_b32 s62, s66, 2                                     // 00000000309C: 8E3E8242
	s_mul_i32 s62, s60, s62                                    // 0000000030A0: 923E3E3C
	s_add_u32 s28, s62, s28                                    // 0000000030A4: 801C1C3E
	s_addc_u32 s29, 0, s29                                     // 0000000030A8: 821D1D80
	s_mov_b32 s4, 4                                            // 0000000030AC: BE840084
	s_mov_b32 s57, 0x80                                        // 0000000030B0: BEB900FF 00000080
	s_mov_b32 s58, 0x800                                       // 0000000030B8: BEBA00FF 00000800
	s_mov_b32 s83, s58                                         // 0000000030C0: BED3003A
	s_mov_b32 s52, 0x7060302                                   // 0000000030C4: BEB400FF 07060302
	s_mov_b32 s53, 0x400                                       // 0000000030CC: BEB500FF 00000400
	s_mov_b32 s54, 0x40100                                     // 0000000030D4: BEB600FF 00040100
	s_mov_b32 s55, 0x4020100                                   // 0000000030DC: BEB700FF 04020100
	s_mov_b32 s6, 0x3fb8aa3b                                   // 0000000030E4: BE8600FF 3FB8AA3B
	s_mov_b32 s78, 0xbd92220c                                  // 0000000030EC: BECE00FF BD92220C
	s_mov_b32 s79, 0xbd92220c                                  // 0000000030F4: BECF00FF BD92220C
	s_mov_b32 m0, s48                                          // 0000000030FC: BEFC0030
	v_mov_b32_e32 v1, 0xbfcc4231                               // 000000003100: 7E0202FF BFCC4231
	v_mov_b32_e32 v17, 0xffff0000                              // 000000003108: 7E2202FF FFFF0000
	v_mov_b32_e32 v18, 0x7fff0000                              // 000000003110: 7E2402FF 7FFF0000
	v_mov_b32_e32 v19, 0x7fff                                  // 000000003118: 7E2602FF 00007FFF
	s_waitcnt vmcnt(0) expcnt(0) lgkmcnt(0)                    // 000000003120: BF8C0000
	v_lshrrev_b32_e32 v4, 5, v0                                // 000000003124: 20080085
	v_xor_b32_e32 v5, 1, v4                                    // 000000003128: 2A0A0881
	v_readlane_b32 s82, v3, 0                                  // 00000000312C: D2890052 00010103
	s_and_b32 s82, s82, 0xffffff                               // 000000003134: 8652FF52 00FFFFFF
	v_mul_lo_u32 v6, v5, s82                                   // 00000000313C: D2850006 0000A505
	v_readlane_b32 s82, v3, 1                                  // 000000003144: D2890052 00010303
	s_and_b32 s82, s82, 0xffffff                               // 00000000314C: 8652FF52 00FFFFFF
	v_mul_lo_u32 v7, v4, s82                                   // 000000003154: D2850007 0000A504
	v_add_u32_e32 v64, v6, v7                                  // 00000000315C: 68800F06
	v_mul_lo_u32 v64, v64, s68                                 // 000000003160: D2850040 00008940
	v_readlane_b32 s82, v3, 2                                  // 000000003168: D2890052 00010503
	s_and_b32 s82, s82, 0xffffff                               // 000000003170: 8652FF52 00FFFFFF
	v_mul_lo_u32 v6, v5, s82                                   // 000000003178: D2850006 0000A505
	v_readlane_b32 s82, v3, 3                                  // 000000003180: D2890052 00010703
	s_and_b32 s82, s82, 0xffffff                               // 000000003188: 8652FF52 00FFFFFF
	v_mul_lo_u32 v7, v4, s82                                   // 000000003190: D2850007 0000A504
	v_add_u32_e32 v65, v6, v7                                  // 000000003198: 68820F06
	v_mul_lo_u32 v65, v65, s68                                 // 00000000319C: D2850041 00008941
	v_readlane_b32 s82, v3, 4                                  // 0000000031A4: D2890052 00010903
	s_and_b32 s82, s82, 0xffffff                               // 0000000031AC: 8652FF52 00FFFFFF
	v_mul_lo_u32 v6, v5, s82                                   // 0000000031B4: D2850006 0000A505
	v_readlane_b32 s82, v3, 5                                  // 0000000031BC: D2890052 00010B03
	s_and_b32 s82, s82, 0xffffff                               // 0000000031C4: 8652FF52 00FFFFFF
	v_mul_lo_u32 v7, v4, s82                                   // 0000000031CC: D2850007 0000A504
	v_add_u32_e32 v66, v6, v7                                  // 0000000031D4: 68840F06
	v_mul_lo_u32 v66, v66, s68                                 // 0000000031D8: D2850042 00008942
	v_readlane_b32 s82, v3, 6                                  // 0000000031E0: D2890052 00010D03
	s_and_b32 s82, s82, 0xffffff                               // 0000000031E8: 8652FF52 00FFFFFF
	v_mul_lo_u32 v6, v5, s82                                   // 0000000031F0: D2850006 0000A505
	v_readlane_b32 s82, v3, 7                                  // 0000000031F8: D2890052 00010F03
	s_and_b32 s82, s82, 0xffffff                               // 000000003200: 8652FF52 00FFFFFF
	v_mul_lo_u32 v7, v4, s82                                   // 000000003208: D2850007 0000A504
	v_add_u32_e32 v67, v6, v7                                  // 000000003210: 68860F06
	v_mul_lo_u32 v67, v67, s68                                 // 000000003214: D2850043 00008943
	v_readlane_b32 s82, v3, 8                                  // 00000000321C: D2890052 00011103
	s_and_b32 s82, s82, 0xffffff                               // 000000003224: 8652FF52 00FFFFFF
	v_mul_lo_u32 v6, v5, s82                                   // 00000000322C: D2850006 0000A505
	v_readlane_b32 s82, v3, 9                                  // 000000003234: D2890052 00011303
	s_and_b32 s82, s82, 0xffffff                               // 00000000323C: 8652FF52 00FFFFFF
	v_mul_lo_u32 v7, v4, s82                                   // 000000003244: D2850007 0000A504
	v_add_u32_e32 v68, v6, v7                                  // 00000000324C: 68880F06
	v_mul_lo_u32 v68, v68, s68                                 // 000000003250: D2850044 00008944
	v_readlane_b32 s82, v3, 10                                 // 000000003258: D2890052 00011503
	s_and_b32 s82, s82, 0xffffff                               // 000000003260: 8652FF52 00FFFFFF
	v_mul_lo_u32 v6, v5, s82                                   // 000000003268: D2850006 0000A505
	v_readlane_b32 s82, v3, 11                                 // 000000003270: D2890052 00011703
	s_and_b32 s82, s82, 0xffffff                               // 000000003278: 8652FF52 00FFFFFF
	v_mul_lo_u32 v7, v4, s82                                   // 000000003280: D2850007 0000A504
	v_add_u32_e32 v69, v6, v7                                  // 000000003288: 688A0F06
	v_mul_lo_u32 v69, v69, s68                                 // 00000000328C: D2850045 00008945
	v_readlane_b32 s82, v3, 12                                 // 000000003294: D2890052 00011903
	s_and_b32 s82, s82, 0xffffff                               // 00000000329C: 8652FF52 00FFFFFF
	v_mul_lo_u32 v6, v5, s82                                   // 0000000032A4: D2850006 0000A505
	v_readlane_b32 s82, v3, 13                                 // 0000000032AC: D2890052 00011B03
	s_and_b32 s82, s82, 0xffffff                               // 0000000032B4: 8652FF52 00FFFFFF
	v_mul_lo_u32 v7, v4, s82                                   // 0000000032BC: D2850007 0000A504
	v_add_u32_e32 v70, v6, v7                                  // 0000000032C4: 688C0F06
	v_mul_lo_u32 v70, v70, s68                                 // 0000000032C8: D2850046 00008946
	v_readlane_b32 s82, v3, 14                                 // 0000000032D0: D2890052 00011D03
	s_and_b32 s82, s82, 0xffffff                               // 0000000032D8: 8652FF52 00FFFFFF
	v_mul_lo_u32 v6, v5, s82                                   // 0000000032E0: D2850006 0000A505
	v_readlane_b32 s82, v3, 15                                 // 0000000032E8: D2890052 00011F03
	s_and_b32 s82, s82, 0xffffff                               // 0000000032F0: 8652FF52 00FFFFFF
	v_mul_lo_u32 v7, v4, s82                                   // 0000000032F8: D2850007 0000A504
	v_add_u32_e32 v71, v6, v7                                  // 000000003300: 688E0F06
	v_mul_lo_u32 v71, v71, s68                                 // 000000003304: D2850047 00008947
	v_readlane_b32 s82, v3, 16                                 // 00000000330C: D2890052 00012103
	s_and_b32 s82, s82, 0xffffff                               // 000000003314: 8652FF52 00FFFFFF
	v_mul_lo_u32 v6, v5, s82                                   // 00000000331C: D2850006 0000A505
	v_readlane_b32 s82, v3, 17                                 // 000000003324: D2890052 00012303
	s_and_b32 s82, s82, 0xffffff                               // 00000000332C: 8652FF52 00FFFFFF
	v_mul_lo_u32 v7, v4, s82                                   // 000000003334: D2850007 0000A504
	v_add_u32_e32 v72, v6, v7                                  // 00000000333C: 68900F06
	v_mul_lo_u32 v72, v72, s68                                 // 000000003340: D2850048 00008948
	v_readlane_b32 s82, v3, 18                                 // 000000003348: D2890052 00012503
	s_and_b32 s82, s82, 0xffffff                               // 000000003350: 8652FF52 00FFFFFF
	v_mul_lo_u32 v6, v5, s82                                   // 000000003358: D2850006 0000A505
	v_readlane_b32 s82, v3, 19                                 // 000000003360: D2890052 00012703
	s_and_b32 s82, s82, 0xffffff                               // 000000003368: 8652FF52 00FFFFFF
	v_mul_lo_u32 v7, v4, s82                                   // 000000003370: D2850007 0000A504
	v_add_u32_e32 v73, v6, v7                                  // 000000003378: 68920F06
	v_mul_lo_u32 v73, v73, s68                                 // 00000000337C: D2850049 00008949
	v_readlane_b32 s82, v3, 20                                 // 000000003384: D2890052 00012903
	s_and_b32 s82, s82, 0xffffff                               // 00000000338C: 8652FF52 00FFFFFF
	v_mul_lo_u32 v6, v5, s82                                   // 000000003394: D2850006 0000A505
	v_readlane_b32 s82, v3, 21                                 // 00000000339C: D2890052 00012B03
	s_and_b32 s82, s82, 0xffffff                               // 0000000033A4: 8652FF52 00FFFFFF
	v_mul_lo_u32 v7, v4, s82                                   // 0000000033AC: D2850007 0000A504
	v_add_u32_e32 v74, v6, v7                                  // 0000000033B4: 68940F06
	v_mul_lo_u32 v74, v74, s68                                 // 0000000033B8: D285004A 0000894A
	v_readlane_b32 s82, v3, 22                                 // 0000000033C0: D2890052 00012D03
	s_and_b32 s82, s82, 0xffffff                               // 0000000033C8: 8652FF52 00FFFFFF
	v_mul_lo_u32 v6, v5, s82                                   // 0000000033D0: D2850006 0000A505
	v_readlane_b32 s82, v3, 23                                 // 0000000033D8: D2890052 00012F03
	s_and_b32 s82, s82, 0xffffff                               // 0000000033E0: 8652FF52 00FFFFFF
	v_mul_lo_u32 v7, v4, s82                                   // 0000000033E8: D2850007 0000A504
	v_add_u32_e32 v75, v6, v7                                  // 0000000033F0: 68960F06
	v_mul_lo_u32 v75, v75, s68                                 // 0000000033F4: D285004B 0000894B
	v_readlane_b32 s82, v3, 24                                 // 0000000033FC: D2890052 00013103
	s_and_b32 s82, s82, 0xffffff                               // 000000003404: 8652FF52 00FFFFFF
	v_mul_lo_u32 v6, v5, s82                                   // 00000000340C: D2850006 0000A505
	v_readlane_b32 s82, v3, 25                                 // 000000003414: D2890052 00013303
	s_and_b32 s82, s82, 0xffffff                               // 00000000341C: 8652FF52 00FFFFFF
	v_mul_lo_u32 v7, v4, s82                                   // 000000003424: D2850007 0000A504
	v_add_u32_e32 v76, v6, v7                                  // 00000000342C: 68980F06
	v_mul_lo_u32 v76, v76, s68                                 // 000000003430: D285004C 0000894C
	v_readlane_b32 s82, v3, 26                                 // 000000003438: D2890052 00013503
	s_and_b32 s82, s82, 0xffffff                               // 000000003440: 8652FF52 00FFFFFF
	v_mul_lo_u32 v6, v5, s82                                   // 000000003448: D2850006 0000A505
	v_readlane_b32 s82, v3, 27                                 // 000000003450: D2890052 00013703
	s_and_b32 s82, s82, 0xffffff                               // 000000003458: 8652FF52 00FFFFFF
	v_mul_lo_u32 v7, v4, s82                                   // 000000003460: D2850007 0000A504
	v_add_u32_e32 v77, v6, v7                                  // 000000003468: 689A0F06
	v_mul_lo_u32 v77, v77, s68                                 // 00000000346C: D285004D 0000894D
	v_readlane_b32 s82, v3, 28                                 // 000000003474: D2890052 00013903
	s_and_b32 s82, s82, 0xffffff                               // 00000000347C: 8652FF52 00FFFFFF
	v_mul_lo_u32 v6, v5, s82                                   // 000000003484: D2850006 0000A505
	v_readlane_b32 s82, v3, 29                                 // 00000000348C: D2890052 00013B03
	s_and_b32 s82, s82, 0xffffff                               // 000000003494: 8652FF52 00FFFFFF
	v_mul_lo_u32 v7, v4, s82                                   // 00000000349C: D2850007 0000A504
	v_add_u32_e32 v78, v6, v7                                  // 0000000034A4: 689C0F06
	v_mul_lo_u32 v78, v78, s68                                 // 0000000034A8: D285004E 0000894E
	v_readlane_b32 s82, v3, 30                                 // 0000000034B0: D2890052 00013D03
	s_and_b32 s82, s82, 0xffffff                               // 0000000034B8: 8652FF52 00FFFFFF
	v_mul_lo_u32 v6, v5, s82                                   // 0000000034C0: D2850006 0000A505
	v_readlane_b32 s82, v3, 31                                 // 0000000034C8: D2890052 00013F03
	s_and_b32 s82, s82, 0xffffff                               // 0000000034D0: 8652FF52 00FFFFFF
	v_mul_lo_u32 v7, v4, s82                                   // 0000000034D8: D2850007 0000A504
	v_add_u32_e32 v79, v6, v7                                  // 0000000034E0: 689E0F06
	v_mul_lo_u32 v79, v79, s68                                 // 0000000034E4: D285004F 0000894F
	v_readlane_b32 s82, v3, 32                                 // 0000000034EC: D2890052 00014103
	s_and_b32 s82, s82, 0xffffff                               // 0000000034F4: 8652FF52 00FFFFFF
	v_mul_lo_u32 v6, v5, s82                                   // 0000000034FC: D2850006 0000A505
	v_readlane_b32 s82, v3, 33                                 // 000000003504: D2890052 00014303
	s_and_b32 s82, s82, 0xffffff                               // 00000000350C: 8652FF52 00FFFFFF
	v_mul_lo_u32 v7, v4, s82                                   // 000000003514: D2850007 0000A504
	v_add_u32_e32 v80, v6, v7                                  // 00000000351C: 68A00F06
	v_mul_lo_u32 v80, v80, s68                                 // 000000003520: D2850050 00008950
	v_readlane_b32 s82, v3, 34                                 // 000000003528: D2890052 00014503
	s_and_b32 s82, s82, 0xffffff                               // 000000003530: 8652FF52 00FFFFFF
	v_mul_lo_u32 v6, v5, s82                                   // 000000003538: D2850006 0000A505
	v_readlane_b32 s82, v3, 35                                 // 000000003540: D2890052 00014703
	s_and_b32 s82, s82, 0xffffff                               // 000000003548: 8652FF52 00FFFFFF
	v_mul_lo_u32 v7, v4, s82                                   // 000000003550: D2850007 0000A504
	v_add_u32_e32 v81, v6, v7                                  // 000000003558: 68A20F06
	v_mul_lo_u32 v81, v81, s68                                 // 00000000355C: D2850051 00008951
	v_and_b32_e32 v4, 31, v0                                   // 000000003564: 2608009F
	v_lshlrev_b32_e32 v4, 2, v4                                // 000000003568: 24080882
	v_add_u32_e32 v64, v64, v4                                 // 00000000356C: 68800940
	v_add_u32_e32 v65, v65, v4                                 // 000000003570: 68820941
	v_add_u32_e32 v66, v66, v4                                 // 000000003574: 68840942
	;; [unrolled: 1-line block ×3, first 2 shown]
	v_add_u32_e32 v68, v68, v4                                 // 00000000357C: 68880944
	v_add_u32_e32 v69, v69, v4                                 // 000000003580: 688A0945
	v_add_u32_e32 v70, v70, v4                                 // 000000003584: 688C0946
	v_add_u32_e32 v71, v71, v4                                 // 000000003588: 688E0947
	v_add_u32_e32 v72, v72, v4                                 // 00000000358C: 68900948
	v_add_u32_e32 v73, v73, v4                                 // 000000003590: 68920949
	v_add_u32_e32 v74, v74, v4                                 // 000000003594: 6894094A
	v_add_u32_e32 v75, v75, v4                                 // 000000003598: 6896094B
	v_add_u32_e32 v76, v76, v4                                 // 00000000359C: 6898094C
	v_add_u32_e32 v77, v77, v4                                 // 0000000035A0: 689A094D
	v_add_u32_e32 v78, v78, v4                                 // 0000000035A4: 689C094E
	v_add_u32_e32 v79, v79, v4                                 // 0000000035A8: 689E094F
	v_add_u32_e32 v80, v80, v4                                 // 0000000035AC: 68A00950
	v_add_u32_e32 v81, v81, v4                                 // 0000000035B0: 68A20951
	v_and_b32_e32 v28, 0xffffff, v28                           // 0000000035B4: 263838FF 00FFFFFF
	v_lshlrev_b32_e32 v28, 2, v28                              // 0000000035BC: 24383882
	v_and_b32_e32 v29, 0xffffff, v29                           // 0000000035C0: 263A3AFF 00FFFFFF
	v_lshlrev_b32_e32 v29, 2, v29                              // 0000000035C8: 243A3A82
	v_and_b32_e32 v30, 0xffffff, v30                           // 0000000035CC: 263C3CFF 00FFFFFF
	v_lshlrev_b32_e32 v30, 2, v30                              // 0000000035D4: 243C3C82
	v_and_b32_e32 v31, 0xffffff, v31                           // 0000000035D8: 263E3EFF 00FFFFFF
	v_lshlrev_b32_e32 v31, 2, v31                              // 0000000035E0: 243E3E82
	v_and_b32_e32 v32, 0xffffff, v32                           // 0000000035E4: 264040FF 00FFFFFF
	v_lshlrev_b32_e32 v32, 2, v32                              // 0000000035EC: 24404082
	v_and_b32_e32 v33, 0xffffff, v33                           // 0000000035F0: 264242FF 00FFFFFF
	v_lshlrev_b32_e32 v33, 2, v33                              // 0000000035F8: 24424282
	v_and_b32_e32 v34, 0xffffff, v34                           // 0000000035FC: 264444FF 00FFFFFF
	v_lshlrev_b32_e32 v34, 2, v34                              // 000000003604: 24444482
	v_and_b32_e32 v35, 0xffffff, v35                           // 000000003608: 264646FF 00FFFFFF
	v_lshlrev_b32_e32 v35, 2, v35                              // 000000003610: 24464682
	v_and_b32_e32 v36, 0xffffff, v36                           // 000000003614: 264848FF 00FFFFFF
	v_lshlrev_b32_e32 v36, 2, v36                              // 00000000361C: 24484882
	s_lshl_b32 s3, s66, 2                                      // 000000003620: 8E038242
	buffer_load_dword v64, s[20:23], 0 offen lds               // 000000003624: E0511000 80050040
	s_add_u32 m0, 0x100, s48                                   // 00000000362C: 807C30FF 00000100
	buffer_load_dword v65, s[20:23], 0 offen lds               // 000000003634: E0511000 80050041
	s_add_u32 m0, 0x200, s48                                   // 00000000363C: 807C30FF 00000200
	buffer_load_dword v66, s[20:23], 0 offen lds               // 000000003644: E0511000 80050042
	s_add_u32 m0, 0x300, s48                                   // 00000000364C: 807C30FF 00000300
	buffer_load_dword v67, s[20:23], 0 offen lds               // 000000003654: E0511000 80050043
	s_add_u32 m0, 0x400, s48                                   // 00000000365C: 807C30FF 00000400
	buffer_load_dword v68, s[20:23], 0 offen lds               // 000000003664: E0511000 80050044
	s_add_u32 m0, 0x500, s48                                   // 00000000366C: 807C30FF 00000500
	buffer_load_dword v69, s[20:23], 0 offen lds               // 000000003674: E0511000 80050045
	s_add_u32 m0, 0x600, s48                                   // 00000000367C: 807C30FF 00000600
	buffer_load_dword v70, s[20:23], 0 offen lds               // 000000003684: E0511000 80050046
	s_add_u32 m0, 0x700, s48                                   // 00000000368C: 807C30FF 00000700
	buffer_load_dword v71, s[20:23], 0 offen lds               // 000000003694: E0511000 80050047
	s_add_u32 m0, 0x800, s48                                   // 00000000369C: 807C30FF 00000800
	buffer_load_dword v72, s[20:23], 0 offen lds               // 0000000036A4: E0511000 80050048
	s_add_u32 m0, 0x900, s48                                   // 0000000036AC: 807C30FF 00000900
	buffer_load_dword v73, s[20:23], 0 offen lds               // 0000000036B4: E0511000 80050049
	s_add_u32 m0, 0xa00, s48                                   // 0000000036BC: 807C30FF 00000A00
	buffer_load_dword v74, s[20:23], 0 offen lds               // 0000000036C4: E0511000 8005004A
	s_add_u32 m0, 0xb00, s48                                   // 0000000036CC: 807C30FF 00000B00
	buffer_load_dword v75, s[20:23], 0 offen lds               // 0000000036D4: E0511000 8005004B
	s_add_u32 m0, 0xc00, s48                                   // 0000000036DC: 807C30FF 00000C00
	buffer_load_dword v76, s[20:23], 0 offen lds               // 0000000036E4: E0511000 8005004C
	s_add_u32 m0, 0xd00, s48                                   // 0000000036EC: 807C30FF 00000D00
	buffer_load_dword v77, s[20:23], 0 offen lds               // 0000000036F4: E0511000 8005004D
	s_add_u32 m0, 0xe00, s48                                   // 0000000036FC: 807C30FF 00000E00
	buffer_load_dword v78, s[20:23], 0 offen lds               // 000000003704: E0511000 8005004E
	s_add_u32 m0, 0xf00, s48                                   // 00000000370C: 807C30FF 00000F00
	buffer_load_dword v79, s[20:23], 0 offen lds               // 000000003714: E0511000 8005004F
	s_add_u32 m0, 0x1000, s48                                  // 00000000371C: 807C30FF 00001000
	buffer_load_dword v80, s[20:23], 0 offen lds               // 000000003724: E0511000 80050050
	s_add_u32 m0, 0x1100, s48                                  // 00000000372C: 807C30FF 00001100
	buffer_load_dword v81, s[20:23], 0 offen lds               // 000000003734: E0511000 80050051
	s_add_u32 m0, 0, s49                                       // 00000000373C: 807C3180
	s_add_u32 s20, s57, s20                                    // 000000003740: 80141439
	s_addc_u32 s21, 0, s21                                     // 000000003744: 82151580
	buffer_load_dword v37, v28, s[28:31], 0 offen              // 000000003748: E0501000 8007251C
	buffer_load_dword v38, v29, s[28:31], 0 offen              // 000000003750: E0501000 8007261D
	buffer_load_dword v39, v30, s[28:31], 0 offen              // 000000003758: E0501000 8007271E
	buffer_load_dword v40, v31, s[28:31], 0 offen              // 000000003760: E0501000 8007281F
	buffer_load_dword v41, v32, s[28:31], 0 offen              // 000000003768: E0501000 80072920
	buffer_load_dword v42, v33, s[28:31], 0 offen              // 000000003770: E0501000 80072A21
	buffer_load_dword v43, v34, s[28:31], 0 offen              // 000000003778: E0501000 80072B22
	buffer_load_dword v44, v35, s[28:31], 0 offen              // 000000003780: E0501000 80072C23
	buffer_load_dword v45, v36, s[28:31], 0 offen              // 000000003788: E0501000 80072D24
	s_add_u32 s28, s3, s28                                     // 000000003790: 801C1C03
	s_addc_u32 s29, 0, s29                                     // 000000003794: 821D1D80
	buffer_load_dword v64, s[20:23], 0 offen lds               // 000000003798: E0511000 80050040
	s_add_u32 m0, 0x100, s49                                   // 0000000037A0: 807C31FF 00000100
	buffer_load_dword v65, s[20:23], 0 offen lds               // 0000000037A8: E0511000 80050041
	s_add_u32 m0, 0x200, s49                                   // 0000000037B0: 807C31FF 00000200
	buffer_load_dword v66, s[20:23], 0 offen lds               // 0000000037B8: E0511000 80050042
	s_add_u32 m0, 0x300, s49                                   // 0000000037C0: 807C31FF 00000300
	buffer_load_dword v67, s[20:23], 0 offen lds               // 0000000037C8: E0511000 80050043
	s_add_u32 m0, 0x400, s49                                   // 0000000037D0: 807C31FF 00000400
	buffer_load_dword v68, s[20:23], 0 offen lds               // 0000000037D8: E0511000 80050044
	s_add_u32 m0, 0x500, s49                                   // 0000000037E0: 807C31FF 00000500
	buffer_load_dword v69, s[20:23], 0 offen lds               // 0000000037E8: E0511000 80050045
	s_add_u32 m0, 0x600, s49                                   // 0000000037F0: 807C31FF 00000600
	buffer_load_dword v70, s[20:23], 0 offen lds               // 0000000037F8: E0511000 80050046
	s_add_u32 m0, 0x700, s49                                   // 000000003800: 807C31FF 00000700
	buffer_load_dword v71, s[20:23], 0 offen lds               // 000000003808: E0511000 80050047
	s_add_u32 m0, 0x800, s49                                   // 000000003810: 807C31FF 00000800
	buffer_load_dword v72, s[20:23], 0 offen lds               // 000000003818: E0511000 80050048
	;; [unrolled: 2-line block ×3, first 2 shown]
	s_add_u32 m0, 0xa00, s49                                   // 000000003830: 807C31FF 00000A00
	buffer_load_dword v74, s[20:23], 0 offen lds               // 000000003838: E0511000 8005004A
	s_add_u32 m0, 0xb00, s49                                   // 000000003840: 807C31FF 00000B00
	buffer_load_dword v75, s[20:23], 0 offen lds               // 000000003848: E0511000 8005004B
	s_add_u32 m0, 0xc00, s49                                   // 000000003850: 807C31FF 00000C00
	buffer_load_dword v76, s[20:23], 0 offen lds               // 000000003858: E0511000 8005004C
	s_add_u32 m0, 0xd00, s49                                   // 000000003860: 807C31FF 00000D00
	buffer_load_dword v77, s[20:23], 0 offen lds               // 000000003868: E0511000 8005004D
	s_add_u32 m0, 0xe00, s49                                   // 000000003870: 807C31FF 00000E00
	buffer_load_dword v78, s[20:23], 0 offen lds               // 000000003878: E0511000 8005004E
	s_add_u32 m0, 0xf00, s49                                   // 000000003880: 807C31FF 00000F00
	buffer_load_dword v79, s[20:23], 0 offen lds               // 000000003888: E0511000 8005004F
	s_add_u32 m0, 0x1000, s49                                  // 000000003890: 807C31FF 00001000
	buffer_load_dword v80, s[20:23], 0 offen lds               // 000000003898: E0511000 80050050
	s_add_u32 m0, 0x1100, s49                                  // 0000000038A0: 807C31FF 00001100
	buffer_load_dword v81, s[20:23], 0 offen lds               // 0000000038A8: E0511000 80050051
	s_add_u32 m0, 0, s48                                       // 0000000038B0: 807C3080
	s_add_u32 s20, s57, s20                                    // 0000000038B4: 80141439
	s_addc_u32 s21, 0, s21                                     // 0000000038B8: 82151580
	buffer_load_dword v46, v28, s[28:31], 0 offen              // 0000000038BC: E0501000 80072E1C
	buffer_load_dword v47, v29, s[28:31], 0 offen              // 0000000038C4: E0501000 80072F1D
	buffer_load_dword v48, v30, s[28:31], 0 offen              // 0000000038CC: E0501000 8007301E
	buffer_load_dword v49, v31, s[28:31], 0 offen              // 0000000038D4: E0501000 8007311F
	buffer_load_dword v50, v32, s[28:31], 0 offen              // 0000000038DC: E0501000 80073220
	buffer_load_dword v51, v33, s[28:31], 0 offen              // 0000000038E4: E0501000 80073321
	buffer_load_dword v52, v34, s[28:31], 0 offen              // 0000000038EC: E0501000 80073422
	buffer_load_dword v53, v35, s[28:31], 0 offen              // 0000000038F4: E0501000 80073523
	buffer_load_dword v54, v36, s[28:31], 0 offen              // 0000000038FC: E0501000 80073624
	s_add_u32 s28, s3, s28                                     // 000000003904: 801C1C03
	s_addc_u32 s29, 0, s29                                     // 000000003908: 821D1D80
	buffer_load_dword v24, v22, s[32:35], 0 offen              // 00000000390C: E0501000 80081816
	buffer_load_dwordx4 a[144:147], v82, s[24:27], 0 offen     // 000000003914: E05C1000 80869052
	buffer_load_dwordx4 a[148:151], v82, s[24:27], 0 offen offset:1024// 00000000391C: E05C1400 80869452
	buffer_load_dwordx4 a[152:155], v83, s[24:27], 0 offen     // 000000003924: E05C1000 80869853
	buffer_load_dwordx4 a[156:159], v83, s[24:27], 0 offen offset:1024// 00000000392C: E05C1400 80869C53
	s_add_u32 s24, s58, s24                                    // 000000003934: 8018183A
	s_addc_u32 s25, 0, s25                                     // 000000003938: 82191980
	s_waitcnt vmcnt(41)                                        // 00000000393C: BF8C8F79
	s_barrier                                                  // 000000003940: BF8A0000
	ds_read_b128 a[0:3], v2                                    // 000000003944: DBFE0000 00000002
	ds_read_b128 a[4:7], v2 offset:64                          // 00000000394C: DBFE0040 04000002
	ds_read_b128 a[8:11], v2 offset:512                        // 000000003954: DBFE0200 08000002
	ds_read_b128 a[12:15], v2 offset:576                       // 00000000395C: DBFE0240 0C000002
	ds_read_b128 a[16:19], v2 offset:1024                      // 000000003964: DBFE0400 10000002
	ds_read_b128 a[20:23], v2 offset:1088                      // 00000000396C: DBFE0440 14000002
	ds_read_b128 a[24:27], v2 offset:1536                      // 000000003974: DBFE0600 18000002
	ds_read_b128 a[28:31], v2 offset:1600                      // 00000000397C: DBFE0640 1C000002
	ds_read_b128 a[32:35], v2 offset:2048                      // 000000003984: DBFE0800 20000002
	ds_read_b128 a[36:39], v2 offset:2112                      // 00000000398C: DBFE0840 24000002
	ds_read_b128 a[40:43], v2 offset:2560                      // 000000003994: DBFE0A00 28000002
	ds_read_b128 a[44:47], v2 offset:2624                      // 00000000399C: DBFE0A40 2C000002
	ds_read_b128 a[48:51], v2 offset:3072                      // 0000000039A4: DBFE0C00 30000002
	ds_read_b128 a[52:55], v2 offset:3136                      // 0000000039AC: DBFE0C40 34000002
	ds_read_b128 a[56:59], v2 offset:3584                      // 0000000039B4: DBFE0E00 38000002
	ds_read_b128 a[60:63], v2 offset:3648                      // 0000000039BC: DBFE0E40 3C000002
	ds_read_b128 a[64:67], v2 offset:4096                      // 0000000039C4: DBFE1000 40000002
	ds_read_b128 a[68:71], v2 offset:4160                      // 0000000039CC: DBFE1040 44000002
	s_cmp_lt_i32 s7, 2                                         // 0000000039D4: BF048207
	s_cbranch_scc0 label_1F61                                  // 0000000039D8: BF841B67

00000000000039dc <label_03F7>:
	s_waitcnt vmcnt(2) lgkmcnt(0)                              // 0000000039DC: BF8C0072
	s_barrier                                                  // 0000000039E0: BF8A0000
	v_mov_b32_e32 v55, v37                                     // 0000000039E4: 7E6E0325
	v_mov_b32_e32 v56, v38                                     // 0000000039E8: 7E700326
	v_mov_b32_e32 v57, v39                                     // 0000000039EC: 7E720327
	v_mov_b32_e32 v58, v40                                     // 0000000039F0: 7E740328
	v_mov_b32_e32 v59, v41                                     // 0000000039F4: 7E760329
	v_mov_b32_e32 v60, v42                                     // 0000000039F8: 7E78032A
	v_mov_b32_e32 v61, v43                                     // 0000000039FC: 7E7A032B
	v_mov_b32_e32 v62, v44                                     // 000000003A00: 7E7C032C
	v_mov_b32_e32 v63, v45                                     // 000000003A04: 7E7E032D
	v_mul_f32_dpp v4, v24, v55 row_newbcast:0 row_mask:0xf bank_mask:0xf// 000000003A08: 0A086EFA FF015018
	v_mfma_f32_16x16x32_fp8_fp8 v[8:11], a[144:145], a[0:1], 0 // 000000003A10: D3F30008 1A020190
	buffer_load_dword v27, v23, s[32:35], 0 offen              // 000000003A18: E0501000 80081B17
	v_mfma_f32_16x16x32_fp8_fp8 v[8:11], a[146:147], a[2:3], v[8:11]// 000000003A20: D3F30008 1C220592
	buffer_load_dwordx4 a[160:163], v82, s[84:87], 0 offen     // 000000003A28: E05C1000 8095A052
	v_mfma_f32_16x16x32_fp8_fp8 v[8:11], a[148:149], a[4:5], v[8:11]// 000000003A30: D3F30008 1C220994
	v_mfma_f32_16x16x32_fp8_fp8 v[8:11], a[150:151], a[6:7], v[8:11]// 000000003A38: D3F30008 1C220D96
	v_mul_f32_dpp v6, v24, v56 row_newbcast:0 row_mask:0xf bank_mask:0xf// 000000003A40: 0A0C70FA FF015018
	v_mfma_f32_16x16x32_fp8_fp8 v[12:15], a[144:145], a[8:9], 0// 000000003A48: D3F3000C 1A021190
	v_mfma_f32_16x16x32_fp8_fp8 v[12:15], a[146:147], a[10:11], v[12:15]// 000000003A50: D3F3000C 1C321592
	buffer_load_dwordx4 a[164:167], v82, s[84:87], 0 offen offset:1024// 000000003A58: E05C1400 8095A452
	v_mfma_f32_16x16x32_fp8_fp8 v[12:15], a[148:149], a[12:13], v[12:15]// 000000003A60: D3F3000C 1C321994
	v_mfma_f32_16x16x32_fp8_fp8 v[12:15], a[150:151], a[14:15], v[12:15]// 000000003A68: D3F3000C 1C321D96
	v_fma_f32 v84, v8, v4, v84                                 // 000000003A70: D1CB0054 05520908
	v_fma_f32 v85, v9, v4, v85                                 // 000000003A78: D1CB0055 05560909
	v_fma_f32 v86, v10, v4, v86                                // 000000003A80: D1CB0056 055A090A
	v_fma_f32 v87, v11, v4, v87                                // 000000003A88: D1CB0057 055E090B
	v_mul_f32_dpp v4, v24, v57 row_newbcast:0 row_mask:0xf bank_mask:0xf// 000000003A90: 0A0872FA FF015018
	v_mfma_f32_16x16x32_fp8_fp8 v[8:11], a[144:145], a[16:17], 0// 000000003A98: D3F30008 1A022190
	v_mfma_f32_16x16x32_fp8_fp8 v[8:11], a[146:147], a[18:19], v[8:11]// 000000003AA0: D3F30008 1C222592
	buffer_load_dwordx4 a[168:171], v83, s[84:87], 0 offen     // 000000003AA8: E05C1000 8095A853
	v_mfma_f32_16x16x32_fp8_fp8 v[8:11], a[148:149], a[20:21], v[8:11]// 000000003AB0: D3F30008 1C222994
	v_mfma_f32_16x16x32_fp8_fp8 v[8:11], a[150:151], a[22:23], v[8:11]// 000000003AB8: D3F30008 1C222D96
	v_fma_f32 v88, v12, v6, v88                                // 000000003AC0: D1CB0058 05620D0C
	v_fma_f32 v89, v13, v6, v89                                // 000000003AC8: D1CB0059 05660D0D
	v_fma_f32 v90, v14, v6, v90                                // 000000003AD0: D1CB005A 056A0D0E
	v_fma_f32 v91, v15, v6, v91                                // 000000003AD8: D1CB005B 056E0D0F
	v_mul_f32_dpp v6, v24, v58 row_newbcast:0 row_mask:0xf bank_mask:0xf// 000000003AE0: 0A0C74FA FF015018
	v_mfma_f32_16x16x32_fp8_fp8 v[12:15], a[144:145], a[24:25], 0// 000000003AE8: D3F3000C 1A023190
	v_mfma_f32_16x16x32_fp8_fp8 v[12:15], a[146:147], a[26:27], v[12:15]// 000000003AF0: D3F3000C 1C323592
	buffer_load_dwordx4 a[172:175], v83, s[84:87], 0 offen offset:1024// 000000003AF8: E05C1400 8095AC53
	buffer_load_dword v64, s[20:23], 0 offen lds               // 000000003B00: E0511000 80050040
	s_add_u32 m0, 0x100, s48                                   // 000000003B08: 807C30FF 00000100
	v_mfma_f32_16x16x32_fp8_fp8 v[12:15], a[148:149], a[28:29], v[12:15]// 000000003B10: D3F3000C 1C323994
	v_mfma_f32_16x16x32_fp8_fp8 v[12:15], a[150:151], a[30:31], v[12:15]// 000000003B18: D3F3000C 1C323D96
	buffer_load_dword v65, s[20:23], 0 offen lds               // 000000003B20: E0511000 80050041
	s_add_u32 m0, 0x200, s48                                   // 000000003B28: 807C30FF 00000200
	v_fma_f32 v92, v8, v4, v92                                 // 000000003B30: D1CB005C 05720908
	v_fma_f32 v93, v9, v4, v93                                 // 000000003B38: D1CB005D 05760909
	v_fma_f32 v94, v10, v4, v94                                // 000000003B40: D1CB005E 057A090A
	v_fma_f32 v95, v11, v4, v95                                // 000000003B48: D1CB005F 057E090B
	v_mul_f32_dpp v4, v24, v59 row_newbcast:0 row_mask:0xf bank_mask:0xf// 000000003B50: 0A0876FA FF015018
	v_mfma_f32_16x16x32_fp8_fp8 v[8:11], a[144:145], a[32:33], 0// 000000003B58: D3F30008 1A024190
	v_mfma_f32_16x16x32_fp8_fp8 v[8:11], a[146:147], a[34:35], v[8:11]// 000000003B60: D3F30008 1C224592
	buffer_load_dword v66, s[20:23], 0 offen lds               // 000000003B68: E0511000 80050042
	s_add_u32 m0, 0x300, s48                                   // 000000003B70: 807C30FF 00000300
	v_mfma_f32_16x16x32_fp8_fp8 v[8:11], a[148:149], a[36:37], v[8:11]// 000000003B78: D3F30008 1C224994
	v_mfma_f32_16x16x32_fp8_fp8 v[8:11], a[150:151], a[38:39], v[8:11]// 000000003B80: D3F30008 1C224D96
	buffer_load_dword v67, s[20:23], 0 offen lds               // 000000003B88: E0511000 80050043
	s_add_u32 m0, 0x400, s48                                   // 000000003B90: 807C30FF 00000400
	v_fma_f32 v96, v12, v6, v96                                // 000000003B98: D1CB0060 05820D0C
	v_fma_f32 v97, v13, v6, v97                                // 000000003BA0: D1CB0061 05860D0D
	v_fma_f32 v98, v14, v6, v98                                // 000000003BA8: D1CB0062 058A0D0E
	v_fma_f32 v99, v15, v6, v99                                // 000000003BB0: D1CB0063 058E0D0F
	v_mul_f32_dpp v6, v24, v60 row_newbcast:0 row_mask:0xf bank_mask:0xf// 000000003BB8: 0A0C78FA FF015018
	v_mfma_f32_16x16x32_fp8_fp8 v[12:15], a[144:145], a[40:41], 0// 000000003BC0: D3F3000C 1A025190
	v_mfma_f32_16x16x32_fp8_fp8 v[12:15], a[146:147], a[42:43], v[12:15]// 000000003BC8: D3F3000C 1C325592
	buffer_load_dword v68, s[20:23], 0 offen lds               // 000000003BD0: E0511000 80050044
	s_add_u32 m0, 0x500, s48                                   // 000000003BD8: 807C30FF 00000500
	v_mfma_f32_16x16x32_fp8_fp8 v[12:15], a[148:149], a[44:45], v[12:15]// 000000003BE0: D3F3000C 1C325994
	v_mfma_f32_16x16x32_fp8_fp8 v[12:15], a[150:151], a[46:47], v[12:15]// 000000003BE8: D3F3000C 1C325D96
	buffer_load_dword v69, s[20:23], 0 offen lds               // 000000003BF0: E0511000 80050045
	s_add_u32 m0, 0x600, s48                                   // 000000003BF8: 807C30FF 00000600
	v_fma_f32 v100, v8, v4, v100                               // 000000003C00: D1CB0064 05920908
	v_fma_f32 v101, v9, v4, v101                               // 000000003C08: D1CB0065 05960909
	v_fma_f32 v102, v10, v4, v102                              // 000000003C10: D1CB0066 059A090A
	v_fma_f32 v103, v11, v4, v103                              // 000000003C18: D1CB0067 059E090B
	v_mul_f32_dpp v4, v24, v61 row_newbcast:0 row_mask:0xf bank_mask:0xf// 000000003C20: 0A087AFA FF015018
	v_mfma_f32_16x16x32_fp8_fp8 v[8:11], a[144:145], a[48:49], 0// 000000003C28: D3F30008 1A026190
	v_mfma_f32_16x16x32_fp8_fp8 v[8:11], a[146:147], a[50:51], v[8:11]// 000000003C30: D3F30008 1C226592
	buffer_load_dword v70, s[20:23], 0 offen lds               // 000000003C38: E0511000 80050046
	s_add_u32 m0, 0x700, s48                                   // 000000003C40: 807C30FF 00000700
	v_mfma_f32_16x16x32_fp8_fp8 v[8:11], a[148:149], a[52:53], v[8:11]// 000000003C48: D3F30008 1C226994
	v_mfma_f32_16x16x32_fp8_fp8 v[8:11], a[150:151], a[54:55], v[8:11]// 000000003C50: D3F30008 1C226D96
	buffer_load_dword v71, s[20:23], 0 offen lds               // 000000003C58: E0511000 80050047
	s_add_u32 m0, 0x800, s48                                   // 000000003C60: 807C30FF 00000800
	v_fma_f32 v104, v12, v6, v104                              // 000000003C68: D1CB0068 05A20D0C
	v_fma_f32 v105, v13, v6, v105                              // 000000003C70: D1CB0069 05A60D0D
	v_fma_f32 v106, v14, v6, v106                              // 000000003C78: D1CB006A 05AA0D0E
	v_fma_f32 v107, v15, v6, v107                              // 000000003C80: D1CB006B 05AE0D0F
	v_mul_f32_dpp v6, v24, v62 row_newbcast:0 row_mask:0xf bank_mask:0xf// 000000003C88: 0A0C7CFA FF015018
	v_mfma_f32_16x16x32_fp8_fp8 v[12:15], a[144:145], a[56:57], 0// 000000003C90: D3F3000C 1A027190
	v_mfma_f32_16x16x32_fp8_fp8 v[12:15], a[146:147], a[58:59], v[12:15]// 000000003C98: D3F3000C 1C327592
	buffer_load_dword v72, s[20:23], 0 offen lds               // 000000003CA0: E0511000 80050048
	s_add_u32 m0, 0x900, s48                                   // 000000003CA8: 807C30FF 00000900
	v_mfma_f32_16x16x32_fp8_fp8 v[12:15], a[148:149], a[60:61], v[12:15]// 000000003CB0: D3F3000C 1C327994
	v_mfma_f32_16x16x32_fp8_fp8 v[12:15], a[150:151], a[62:63], v[12:15]// 000000003CB8: D3F3000C 1C327D96
	buffer_load_dword v73, s[20:23], 0 offen lds               // 000000003CC0: E0511000 80050049
	s_add_u32 m0, 0xa00, s48                                   // 000000003CC8: 807C30FF 00000A00
	v_fma_f32 v108, v8, v4, v108                               // 000000003CD0: D1CB006C 05B20908
	v_fma_f32 v109, v9, v4, v109                               // 000000003CD8: D1CB006D 05B60909
	v_fma_f32 v110, v10, v4, v110                              // 000000003CE0: D1CB006E 05BA090A
	v_fma_f32 v111, v11, v4, v111                              // 000000003CE8: D1CB006F 05BE090B
	v_mul_f32_dpp v4, v24, v63 row_newbcast:0 row_mask:0xf bank_mask:0xf// 000000003CF0: 0A087EFA FF015018
	v_mfma_f32_16x16x32_fp8_fp8 v[8:11], a[144:145], a[64:65], 0// 000000003CF8: D3F30008 1A028190
	v_mfma_f32_16x16x32_fp8_fp8 v[8:11], a[146:147], a[66:67], v[8:11]// 000000003D00: D3F30008 1C228592
	buffer_load_dword v74, s[20:23], 0 offen lds               // 000000003D08: E0511000 8005004A
	s_add_u32 m0, 0xb00, s48                                   // 000000003D10: 807C30FF 00000B00
	v_mfma_f32_16x16x32_fp8_fp8 v[8:11], a[148:149], a[68:69], v[8:11]// 000000003D18: D3F30008 1C228994
	v_mfma_f32_16x16x32_fp8_fp8 v[8:11], a[150:151], a[70:71], v[8:11]// 000000003D20: D3F30008 1C228D96
	buffer_load_dword v75, s[20:23], 0 offen lds               // 000000003D28: E0511000 8005004B
	s_add_u32 m0, 0xc00, s48                                   // 000000003D30: 807C30FF 00000C00
	v_fma_f32 v112, v12, v6, v112                              // 000000003D38: D1CB0070 05C20D0C
	v_fma_f32 v113, v13, v6, v113                              // 000000003D40: D1CB0071 05C60D0D
	v_fma_f32 v114, v14, v6, v114                              // 000000003D48: D1CB0072 05CA0D0E
	v_fma_f32 v115, v15, v6, v115                              // 000000003D50: D1CB0073 05CE0D0F
	s_waitcnt vmcnt(17)                                        // 000000003D58: BF8C4F71
	v_mul_f32_dpp v6, v24, v55 row_newbcast:0 row_mask:0xf bank_mask:0xf// 000000003D5C: 0A0C6EFA FF015018
	v_mfma_f32_16x16x32_fp8_fp8 v[12:15], a[152:153], a[0:1], 0// 000000003D64: D3F3000C 1A020198
	v_mfma_f32_16x16x32_fp8_fp8 v[12:15], a[154:155], a[2:3], v[12:15]// 000000003D6C: D3F3000C 1C32059A
	buffer_load_dword v76, s[20:23], 0 offen lds               // 000000003D74: E0511000 8005004C
	s_add_u32 m0, 0xd00, s48                                   // 000000003D7C: 807C30FF 00000D00
	v_mfma_f32_16x16x32_fp8_fp8 v[12:15], a[156:157], a[4:5], v[12:15]// 000000003D84: D3F3000C 1C32099C
	v_mfma_f32_16x16x32_fp8_fp8 v[12:15], a[158:159], a[6:7], v[12:15]// 000000003D8C: D3F3000C 1C320D9E
	buffer_load_dword v77, s[20:23], 0 offen lds               // 000000003D94: E0511000 8005004D
	s_add_u32 m0, 0xe00, s48                                   // 000000003D9C: 807C30FF 00000E00
	v_fma_f32 v116, v8, v4, v116                               // 000000003DA4: D1CB0074 05D20908
	v_fma_f32 v117, v9, v4, v117                               // 000000003DAC: D1CB0075 05D60909
	v_fma_f32 v118, v10, v4, v118                              // 000000003DB4: D1CB0076 05DA090A
	v_fma_f32 v119, v11, v4, v119                              // 000000003DBC: D1CB0077 05DE090B
	v_mul_f32_dpp v4, v24, v56 row_newbcast:0 row_mask:0xf bank_mask:0xf// 000000003DC4: 0A0870FA FF015018
	v_mfma_f32_16x16x32_fp8_fp8 v[8:11], a[152:153], a[8:9], 0 // 000000003DCC: D3F30008 1A021198
	v_mfma_f32_16x16x32_fp8_fp8 v[8:11], a[154:155], a[10:11], v[8:11]// 000000003DD4: D3F30008 1C22159A
	buffer_load_dword v78, s[20:23], 0 offen lds               // 000000003DDC: E0511000 8005004E
	s_add_u32 m0, 0xf00, s48                                   // 000000003DE4: 807C30FF 00000F00
	v_mfma_f32_16x16x32_fp8_fp8 v[8:11], a[156:157], a[12:13], v[8:11]// 000000003DEC: D3F30008 1C22199C
	v_mfma_f32_16x16x32_fp8_fp8 v[8:11], a[158:159], a[14:15], v[8:11]// 000000003DF4: D3F30008 1C221D9E
	buffer_load_dword v79, s[20:23], 0 offen lds               // 000000003DFC: E0511000 8005004F
	s_add_u32 m0, 0x1000, s48                                  // 000000003E04: 807C30FF 00001000
	v_fma_f32 v120, v12, v6, v120                              // 000000003E0C: D1CB0078 05E20D0C
	v_fma_f32 v121, v13, v6, v121                              // 000000003E14: D1CB0079 05E60D0D
	v_fma_f32 v122, v14, v6, v122                              // 000000003E1C: D1CB007A 05EA0D0E
	v_fma_f32 v123, v15, v6, v123                              // 000000003E24: D1CB007B 05EE0D0F
	v_mul_f32_dpp v6, v24, v57 row_newbcast:0 row_mask:0xf bank_mask:0xf// 000000003E2C: 0A0C72FA FF015018
	v_mfma_f32_16x16x32_fp8_fp8 v[12:15], a[152:153], a[16:17], 0// 000000003E34: D3F3000C 1A022198
	v_mfma_f32_16x16x32_fp8_fp8 v[12:15], a[154:155], a[18:19], v[12:15]// 000000003E3C: D3F3000C 1C32259A
	buffer_load_dword v80, s[20:23], 0 offen lds               // 000000003E44: E0511000 80050050
	s_add_u32 m0, 0x1100, s48                                  // 000000003E4C: 807C30FF 00001100
	v_mfma_f32_16x16x32_fp8_fp8 v[12:15], a[156:157], a[20:21], v[12:15]// 000000003E54: D3F3000C 1C32299C
	v_mfma_f32_16x16x32_fp8_fp8 v[12:15], a[158:159], a[22:23], v[12:15]// 000000003E5C: D3F3000C 1C322D9E
	buffer_load_dword v81, s[20:23], 0 offen lds               // 000000003E64: E0511000 80050051
	s_add_u32 m0, 0, s49                                       // 000000003E6C: 807C3180
	v_fma_f32 v124, v8, v4, v124                               // 000000003E70: D1CB007C 05F20908
	v_fma_f32 v125, v9, v4, v125                               // 000000003E78: D1CB007D 05F60909
	v_fma_f32 v126, v10, v4, v126                              // 000000003E80: D1CB007E 05FA090A
	v_fma_f32 v127, v11, v4, v127                              // 000000003E88: D1CB007F 05FE090B
	v_mul_f32_dpp v4, v24, v58 row_newbcast:0 row_mask:0xf bank_mask:0xf// 000000003E90: 0A0874FA FF015018
	v_mfma_f32_16x16x32_fp8_fp8 v[8:11], a[152:153], a[24:25], 0// 000000003E98: D3F30008 1A023198
	v_mfma_f32_16x16x32_fp8_fp8 v[8:11], a[154:155], a[26:27], v[8:11]// 000000003EA0: D3F30008 1C22359A
	buffer_load_dword v37, v28, s[28:31], 0 offen              // 000000003EA8: E0501000 8007251C
	v_mfma_f32_16x16x32_fp8_fp8 v[8:11], a[156:157], a[28:29], v[8:11]// 000000003EB0: D3F30008 1C22399C
	v_mfma_f32_16x16x32_fp8_fp8 v[8:11], a[158:159], a[30:31], v[8:11]// 000000003EB8: D3F30008 1C223D9E
	buffer_load_dword v38, v29, s[28:31], 0 offen              // 000000003EC0: E0501000 8007261D
	v_fma_f32 v128, v12, v6, v128                              // 000000003EC8: D1CB0080 06020D0C
	v_fma_f32 v129, v13, v6, v129                              // 000000003ED0: D1CB0081 06060D0D
	v_fma_f32 v130, v14, v6, v130                              // 000000003ED8: D1CB0082 060A0D0E
	v_fma_f32 v131, v15, v6, v131                              // 000000003EE0: D1CB0083 060E0D0F
	v_mul_f32_dpp v6, v24, v59 row_newbcast:0 row_mask:0xf bank_mask:0xf// 000000003EE8: 0A0C76FA FF015018
	v_mfma_f32_16x16x32_fp8_fp8 v[12:15], a[152:153], a[32:33], 0// 000000003EF0: D3F3000C 1A024198
	v_mfma_f32_16x16x32_fp8_fp8 v[12:15], a[154:155], a[34:35], v[12:15]// 000000003EF8: D3F3000C 1C32459A
	buffer_load_dword v39, v30, s[28:31], 0 offen              // 000000003F00: E0501000 8007271E
	v_mfma_f32_16x16x32_fp8_fp8 v[12:15], a[156:157], a[36:37], v[12:15]// 000000003F08: D3F3000C 1C32499C
	v_mfma_f32_16x16x32_fp8_fp8 v[12:15], a[158:159], a[38:39], v[12:15]// 000000003F10: D3F3000C 1C324D9E
	buffer_load_dword v40, v31, s[28:31], 0 offen              // 000000003F18: E0501000 8007281F
	v_fma_f32 v132, v8, v4, v132                               // 000000003F20: D1CB0084 06120908
	v_fma_f32 v133, v9, v4, v133                               // 000000003F28: D1CB0085 06160909
	v_fma_f32 v134, v10, v4, v134                              // 000000003F30: D1CB0086 061A090A
	v_fma_f32 v135, v11, v4, v135                              // 000000003F38: D1CB0087 061E090B
	v_mul_f32_dpp v4, v24, v60 row_newbcast:0 row_mask:0xf bank_mask:0xf// 000000003F40: 0A0878FA FF015018
	v_mfma_f32_16x16x32_fp8_fp8 v[8:11], a[152:153], a[40:41], 0// 000000003F48: D3F30008 1A025198
	v_mfma_f32_16x16x32_fp8_fp8 v[8:11], a[154:155], a[42:43], v[8:11]// 000000003F50: D3F30008 1C22559A
	buffer_load_dword v41, v32, s[28:31], 0 offen              // 000000003F58: E0501000 80072920
	v_mfma_f32_16x16x32_fp8_fp8 v[8:11], a[156:157], a[44:45], v[8:11]// 000000003F60: D3F30008 1C22599C
	v_mfma_f32_16x16x32_fp8_fp8 v[8:11], a[158:159], a[46:47], v[8:11]// 000000003F68: D3F30008 1C225D9E
	buffer_load_dword v42, v33, s[28:31], 0 offen              // 000000003F70: E0501000 80072A21
	v_fma_f32 v136, v12, v6, v136                              // 000000003F78: D1CB0088 06220D0C
	v_fma_f32 v137, v13, v6, v137                              // 000000003F80: D1CB0089 06260D0D
	v_fma_f32 v138, v14, v6, v138                              // 000000003F88: D1CB008A 062A0D0E
	v_fma_f32 v139, v15, v6, v139                              // 000000003F90: D1CB008B 062E0D0F
	v_mul_f32_dpp v6, v24, v61 row_newbcast:0 row_mask:0xf bank_mask:0xf// 000000003F98: 0A0C7AFA FF015018
	v_mfma_f32_16x16x32_fp8_fp8 v[12:15], a[152:153], a[48:49], 0// 000000003FA0: D3F3000C 1A026198
	v_mfma_f32_16x16x32_fp8_fp8 v[12:15], a[154:155], a[50:51], v[12:15]// 000000003FA8: D3F3000C 1C32659A
	buffer_load_dword v43, v34, s[28:31], 0 offen              // 000000003FB0: E0501000 80072B22
	v_mfma_f32_16x16x32_fp8_fp8 v[12:15], a[156:157], a[52:53], v[12:15]// 000000003FB8: D3F3000C 1C32699C
	v_mfma_f32_16x16x32_fp8_fp8 v[12:15], a[158:159], a[54:55], v[12:15]// 000000003FC0: D3F3000C 1C326D9E
	buffer_load_dword v44, v35, s[28:31], 0 offen              // 000000003FC8: E0501000 80072C23
	v_fma_f32 v140, v8, v4, v140                               // 000000003FD0: D1CB008C 06320908
	v_fma_f32 v141, v9, v4, v141                               // 000000003FD8: D1CB008D 06360909
	v_fma_f32 v142, v10, v4, v142                              // 000000003FE0: D1CB008E 063A090A
	v_fma_f32 v143, v11, v4, v143                              // 000000003FE8: D1CB008F 063E090B
	v_mul_f32_dpp v4, v24, v62 row_newbcast:0 row_mask:0xf bank_mask:0xf// 000000003FF0: 0A087CFA FF015018
	v_mfma_f32_16x16x32_fp8_fp8 v[8:11], a[152:153], a[56:57], 0// 000000003FF8: D3F30008 1A027198
	v_mfma_f32_16x16x32_fp8_fp8 v[8:11], a[154:155], a[58:59], v[8:11]// 000000004000: D3F30008 1C22759A
	buffer_load_dword v45, v36, s[28:31], 0 offen              // 000000004008: E0501000 80072D24
	v_mfma_f32_16x16x32_fp8_fp8 v[8:11], a[156:157], a[60:61], v[8:11]// 000000004010: D3F30008 1C22799C
	v_mfma_f32_16x16x32_fp8_fp8 v[8:11], a[158:159], a[62:63], v[8:11]// 000000004018: D3F30008 1C227D9E
	v_fma_f32 v144, v12, v6, v144                              // 000000004020: D1CB0090 06420D0C
	v_fma_f32 v145, v13, v6, v145                              // 000000004028: D1CB0091 06460D0D
	v_fma_f32 v146, v14, v6, v146                              // 000000004030: D1CB0092 064A0D0E
	v_fma_f32 v147, v15, v6, v147                              // 000000004038: D1CB0093 064E0D0F
	v_mul_f32_dpp v6, v24, v63 row_newbcast:0 row_mask:0xf bank_mask:0xf// 000000004040: 0A0C7EFA FF015018
	v_mfma_f32_16x16x32_fp8_fp8 v[12:15], a[152:153], a[64:65], 0// 000000004048: D3F3000C 1A028198
	v_mfma_f32_16x16x32_fp8_fp8 v[12:15], a[154:155], a[66:67], v[12:15]// 000000004050: D3F3000C 1C32859A
	s_add_u32 s60, 0x80, s80                                   // 000000004058: 803C50FF 00000080
	s_cmp_lt_u32 s60, s81                                      // 000000004060: BF0A513C
	s_cselect_b32 s83, s83, 0                                  // 000000004064: 85538053
	s_cselect_b32 s4, s4, 0                                    // 000000004068: 85048004
	v_mfma_f32_16x16x32_fp8_fp8 v[12:15], a[156:157], a[68:69], v[12:15]// 00000000406C: D3F3000C 1C32899C
	s_add_u32 s32, s4, s32                                     // 000000004074: 80202004
	s_addc_u32 s33, 0, s33                                     // 000000004078: 82212180
	v_mfma_f32_16x16x32_fp8_fp8 v[12:15], a[158:159], a[70:71], v[12:15]// 00000000407C: D3F3000C 1C328D9E
	v_fma_f32 v148, v8, v4, v148                               // 000000004084: D1CB0094 06520908
	v_fma_f32 v149, v9, v4, v149                               // 00000000408C: D1CB0095 06560909
	v_fma_f32 v150, v10, v4, v150                              // 000000004094: D1CB0096 065A090A
	v_fma_f32 v151, v11, v4, v151                              // 00000000409C: D1CB0097 065E090B
	v_fma_f32 v152, v12, v6, v152                              // 0000000040A4: D1CB0098 06620D0C
	v_fma_f32 v153, v13, v6, v153                              // 0000000040AC: D1CB0099 06660D0D
	v_fma_f32 v154, v14, v6, v154                              // 0000000040B4: D1CB009A 066A0D0E
	v_fma_f32 v155, v15, v6, v155                              // 0000000040BC: D1CB009B 066E0D0F
	s_waitcnt vmcnt(27)                                        // 0000000040C4: BF8C4F7B
	v_mul_f32_dpp v4, v27, v55 row_newbcast:0 row_mask:0xf bank_mask:0xf// 0000000040C8: 0A086EFA FF01501B
	v_mfma_f32_16x16x32_fp8_fp8 v[8:11], a[160:161], a[0:1], 0 // 0000000040D0: D3F30008 1A0201A0
	buffer_load_dword v24, v22, s[32:35], 0 offen              // 0000000040D8: E0501000 80081816
	v_mfma_f32_16x16x32_fp8_fp8 v[8:11], a[162:163], a[2:3], v[8:11]// 0000000040E0: D3F30008 1C2205A2
	buffer_load_dwordx4 a[144:147], v82, s[24:27], 0 offen     // 0000000040E8: E05C1000 80869052
	v_mfma_f32_16x16x32_fp8_fp8 v[8:11], a[164:165], a[4:5], v[8:11]// 0000000040F0: D3F30008 1C2209A4
	v_mfma_f32_16x16x32_fp8_fp8 v[8:11], a[166:167], a[6:7], v[8:11]// 0000000040F8: D3F30008 1C220DA6
	ds_read_b128 a[72:75], v2 offset:18560                     // 000000004100: DBFE4880 48000002
	ds_read_b128 a[76:79], v2 offset:18624                     // 000000004108: DBFE48C0 4C000002
	v_mfma_f32_16x16x32_fp8_fp8 v[12:15], a[168:169], a[0:1], 0// 000000004110: D3F3000C 1A0201A8
	v_mfma_f32_16x16x32_fp8_fp8 v[12:15], a[170:171], a[2:3], v[12:15]// 000000004118: D3F3000C 1C3205AA
	buffer_load_dwordx4 a[148:151], v82, s[24:27], 0 offen offset:1024// 000000004120: E05C1400 80869452
	v_mfma_f32_16x16x32_fp8_fp8 v[12:15], a[172:173], a[4:5], v[12:15]// 000000004128: D3F3000C 1C3209AC
	v_mfma_f32_16x16x32_fp8_fp8 v[12:15], a[174:175], a[6:7], v[12:15]// 000000004130: D3F3000C 1C320DAE
	ds_read_b128 a[80:83], v2 offset:19072                     // 000000004138: DBFE4A80 50000002
	ds_read_b128 a[84:87], v2 offset:19136                     // 000000004140: DBFE4AC0 54000002
	v_fma_f32 v156, v8, v4, v156                               // 000000004148: D1CB009C 06720908
	v_fma_f32 v157, v9, v4, v157                               // 000000004150: D1CB009D 06760909
	v_fma_f32 v158, v10, v4, v158                              // 000000004158: D1CB009E 067A090A
	v_fma_f32 v159, v11, v4, v159                              // 000000004160: D1CB009F 067E090B
	v_mul_f32_dpp v6, v27, v56 row_newbcast:0 row_mask:0xf bank_mask:0xf// 000000004168: 0A0C70FA FF01501B
	v_mfma_f32_16x16x32_fp8_fp8 v[8:11], a[160:161], a[8:9], 0 // 000000004170: D3F30008 1A0211A0
	v_mfma_f32_16x16x32_fp8_fp8 v[8:11], a[162:163], a[10:11], v[8:11]// 000000004178: D3F30008 1C2215A2
	buffer_load_dwordx4 a[152:155], v83, s[24:27], 0 offen     // 000000004180: E05C1000 80869853
	v_mfma_f32_16x16x32_fp8_fp8 v[8:11], a[164:165], a[12:13], v[8:11]// 000000004188: D3F30008 1C2219A4
	v_mfma_f32_16x16x32_fp8_fp8 v[8:11], a[166:167], a[14:15], v[8:11]// 000000004190: D3F30008 1C221DA6
	ds_read_b128 a[88:91], v2 offset:19584                     // 000000004198: DBFE4C80 58000002
	ds_read_b128 a[92:95], v2 offset:19648                     // 0000000041A0: DBFE4CC0 5C000002
	v_fma_f32 v192, v12, v4, v192                              // 0000000041A8: D1CB00C0 0702090C
	v_fma_f32 v193, v13, v4, v193                              // 0000000041B0: D1CB00C1 0706090D
	v_fma_f32 v194, v14, v4, v194                              // 0000000041B8: D1CB00C2 070A090E
	v_fma_f32 v195, v15, v4, v195                              // 0000000041C0: D1CB00C3 070E090F
	v_mfma_f32_16x16x32_fp8_fp8 v[12:15], a[168:169], a[8:9], 0// 0000000041C8: D3F3000C 1A0211A8
	v_mfma_f32_16x16x32_fp8_fp8 v[12:15], a[170:171], a[10:11], v[12:15]// 0000000041D0: D3F3000C 1C3215AA
	buffer_load_dwordx4 a[156:159], v83, s[24:27], 0 offen offset:1024// 0000000041D8: E05C1400 80869C53
	v_mfma_f32_16x16x32_fp8_fp8 v[12:15], a[172:173], a[12:13], v[12:15]// 0000000041E0: D3F3000C 1C3219AC
	v_mfma_f32_16x16x32_fp8_fp8 v[12:15], a[174:175], a[14:15], v[12:15]// 0000000041E8: D3F3000C 1C321DAE
	ds_read_b128 a[96:99], v2 offset:20096                     // 0000000041F0: DBFE4E80 60000002
	ds_read_b128 a[100:103], v2 offset:20160                   // 0000000041F8: DBFE4EC0 64000002
	v_fma_f32 v160, v8, v6, v160                               // 000000004200: D1CB00A0 06820D08
	v_fma_f32 v161, v9, v6, v161                               // 000000004208: D1CB00A1 06860D09
	v_fma_f32 v162, v10, v6, v162                              // 000000004210: D1CB00A2 068A0D0A
	v_fma_f32 v163, v11, v6, v163                              // 000000004218: D1CB00A3 068E0D0B
	v_mul_f32_dpp v4, v27, v57 row_newbcast:0 row_mask:0xf bank_mask:0xf// 000000004220: 0A0872FA FF01501B
	v_mfma_f32_16x16x32_fp8_fp8 v[8:11], a[160:161], a[16:17], 0// 000000004228: D3F30008 1A0221A0
	v_mfma_f32_16x16x32_fp8_fp8 v[8:11], a[162:163], a[18:19], v[8:11]// 000000004230: D3F30008 1C2225A2
	v_mfma_f32_16x16x32_fp8_fp8 v[8:11], a[164:165], a[20:21], v[8:11]// 000000004238: D3F30008 1C2229A4
	v_mfma_f32_16x16x32_fp8_fp8 v[8:11], a[166:167], a[22:23], v[8:11]// 000000004240: D3F30008 1C222DA6
	ds_read_b128 a[104:107], v2 offset:20608                   // 000000004248: DBFE5080 68000002
	ds_read_b128 a[108:111], v2 offset:20672                   // 000000004250: DBFE50C0 6C000002
	v_fma_f32 v196, v12, v6, v196                              // 000000004258: D1CB00C4 07120D0C
	v_fma_f32 v197, v13, v6, v197                              // 000000004260: D1CB00C5 07160D0D
	v_fma_f32 v198, v14, v6, v198                              // 000000004268: D1CB00C6 071A0D0E
	v_fma_f32 v199, v15, v6, v199                              // 000000004270: D1CB00C7 071E0D0F
	v_mfma_f32_16x16x32_fp8_fp8 v[12:15], a[168:169], a[16:17], 0// 000000004278: D3F3000C 1A0221A8
	v_mfma_f32_16x16x32_fp8_fp8 v[12:15], a[170:171], a[18:19], v[12:15]// 000000004280: D3F3000C 1C3225AA
	v_mfma_f32_16x16x32_fp8_fp8 v[12:15], a[172:173], a[20:21], v[12:15]// 000000004288: D3F3000C 1C3229AC
	v_mfma_f32_16x16x32_fp8_fp8 v[12:15], a[174:175], a[22:23], v[12:15]// 000000004290: D3F3000C 1C322DAE
	ds_read_b128 a[112:115], v2 offset:21120                   // 000000004298: DBFE5280 70000002
	ds_read_b128 a[116:119], v2 offset:21184                   // 0000000042A0: DBFE52C0 74000002
	v_fma_f32 v164, v8, v4, v164                               // 0000000042A8: D1CB00A4 06920908
	v_fma_f32 v165, v9, v4, v165                               // 0000000042B0: D1CB00A5 06960909
	v_fma_f32 v166, v10, v4, v166                              // 0000000042B8: D1CB00A6 069A090A
	v_fma_f32 v167, v11, v4, v167                              // 0000000042C0: D1CB00A7 069E090B
	v_mul_f32_dpp v6, v27, v58 row_newbcast:0 row_mask:0xf bank_mask:0xf// 0000000042C8: 0A0C74FA FF01501B
	v_mfma_f32_16x16x32_fp8_fp8 v[8:11], a[160:161], a[24:25], 0// 0000000042D0: D3F30008 1A0231A0
	v_mfma_f32_16x16x32_fp8_fp8 v[8:11], a[162:163], a[26:27], v[8:11]// 0000000042D8: D3F30008 1C2235A2
	v_mfma_f32_16x16x32_fp8_fp8 v[8:11], a[164:165], a[28:29], v[8:11]// 0000000042E0: D3F30008 1C2239A4
	v_mfma_f32_16x16x32_fp8_fp8 v[8:11], a[166:167], a[30:31], v[8:11]// 0000000042E8: D3F30008 1C223DA6
	ds_read_b128 a[120:123], v2 offset:21632                   // 0000000042F0: DBFE5480 78000002
	ds_read_b128 a[124:127], v2 offset:21696                   // 0000000042F8: DBFE54C0 7C000002
	v_fma_f32 v200, v12, v4, v200                              // 000000004300: D1CB00C8 0722090C
	v_fma_f32 v201, v13, v4, v201                              // 000000004308: D1CB00C9 0726090D
	v_fma_f32 v202, v14, v4, v202                              // 000000004310: D1CB00CA 072A090E
	v_fma_f32 v203, v15, v4, v203                              // 000000004318: D1CB00CB 072E090F
	v_mfma_f32_16x16x32_fp8_fp8 v[12:15], a[168:169], a[24:25], 0// 000000004320: D3F3000C 1A0231A8
	v_mfma_f32_16x16x32_fp8_fp8 v[12:15], a[170:171], a[26:27], v[12:15]// 000000004328: D3F3000C 1C3235AA
	v_mfma_f32_16x16x32_fp8_fp8 v[12:15], a[172:173], a[28:29], v[12:15]// 000000004330: D3F3000C 1C3239AC
	v_mfma_f32_16x16x32_fp8_fp8 v[12:15], a[174:175], a[30:31], v[12:15]// 000000004338: D3F3000C 1C323DAE
	ds_read_b128 a[128:131], v2 offset:22144                   // 000000004340: DBFE5680 80000002
	ds_read_b128 a[132:135], v2 offset:22208                   // 000000004348: DBFE56C0 84000002
	v_fma_f32 v168, v8, v6, v168                               // 000000004350: D1CB00A8 06A20D08
	v_fma_f32 v169, v9, v6, v169                               // 000000004358: D1CB00A9 06A60D09
	v_fma_f32 v170, v10, v6, v170                              // 000000004360: D1CB00AA 06AA0D0A
	v_fma_f32 v171, v11, v6, v171                              // 000000004368: D1CB00AB 06AE0D0B
	v_mul_f32_dpp v4, v27, v59 row_newbcast:0 row_mask:0xf bank_mask:0xf// 000000004370: 0A0876FA FF01501B
	v_mfma_f32_16x16x32_fp8_fp8 v[8:11], a[160:161], a[32:33], 0// 000000004378: D3F30008 1A0241A0
	v_mfma_f32_16x16x32_fp8_fp8 v[8:11], a[162:163], a[34:35], v[8:11]// 000000004380: D3F30008 1C2245A2
	v_mfma_f32_16x16x32_fp8_fp8 v[8:11], a[164:165], a[36:37], v[8:11]// 000000004388: D3F30008 1C2249A4
	v_mfma_f32_16x16x32_fp8_fp8 v[8:11], a[166:167], a[38:39], v[8:11]// 000000004390: D3F30008 1C224DA6
	ds_read_b128 a[136:139], v2 offset:22656                   // 000000004398: DBFE5880 88000002
	ds_read_b128 a[140:143], v2 offset:22720                   // 0000000043A0: DBFE58C0 8C000002
	v_fma_f32 v204, v12, v6, v204                              // 0000000043A8: D1CB00CC 07320D0C
	v_fma_f32 v205, v13, v6, v205                              // 0000000043B0: D1CB00CD 07360D0D
	v_fma_f32 v206, v14, v6, v206                              // 0000000043B8: D1CB00CE 073A0D0E
	v_fma_f32 v207, v15, v6, v207                              // 0000000043C0: D1CB00CF 073E0D0F
	v_mfma_f32_16x16x32_fp8_fp8 v[12:15], a[168:169], a[32:33], 0// 0000000043C8: D3F3000C 1A0241A8
	v_mfma_f32_16x16x32_fp8_fp8 v[12:15], a[170:171], a[34:35], v[12:15]// 0000000043D0: D3F3000C 1C3245AA
	v_mfma_f32_16x16x32_fp8_fp8 v[12:15], a[172:173], a[36:37], v[12:15]// 0000000043D8: D3F3000C 1C3249AC
	v_mfma_f32_16x16x32_fp8_fp8 v[12:15], a[174:175], a[38:39], v[12:15]// 0000000043E0: D3F3000C 1C324DAE
	v_fma_f32 v172, v8, v4, v172                               // 0000000043E8: D1CB00AC 06B20908
	v_fma_f32 v173, v9, v4, v173                               // 0000000043F0: D1CB00AD 06B60909
	v_fma_f32 v174, v10, v4, v174                              // 0000000043F8: D1CB00AE 06BA090A
	v_fma_f32 v175, v11, v4, v175                              // 000000004400: D1CB00AF 06BE090B
	v_mul_f32_dpp v6, v27, v60 row_newbcast:0 row_mask:0xf bank_mask:0xf// 000000004408: 0A0C78FA FF01501B
	v_mfma_f32_16x16x32_fp8_fp8 v[8:11], a[160:161], a[40:41], 0// 000000004410: D3F30008 1A0251A0
	v_mfma_f32_16x16x32_fp8_fp8 v[8:11], a[162:163], a[42:43], v[8:11]// 000000004418: D3F30008 1C2255A2
	v_mfma_f32_16x16x32_fp8_fp8 v[8:11], a[164:165], a[44:45], v[8:11]// 000000004420: D3F30008 1C2259A4
	v_mfma_f32_16x16x32_fp8_fp8 v[8:11], a[166:167], a[46:47], v[8:11]// 000000004428: D3F30008 1C225DA6
	v_fma_f32 v208, v12, v4, v208                              // 000000004430: D1CB00D0 0742090C
	v_fma_f32 v209, v13, v4, v209                              // 000000004438: D1CB00D1 0746090D
	v_fma_f32 v210, v14, v4, v210                              // 000000004440: D1CB00D2 074A090E
	v_fma_f32 v211, v15, v4, v211                              // 000000004448: D1CB00D3 074E090F
	v_mfma_f32_16x16x32_fp8_fp8 v[12:15], a[168:169], a[40:41], 0// 000000004450: D3F3000C 1A0251A8
	v_mfma_f32_16x16x32_fp8_fp8 v[12:15], a[170:171], a[42:43], v[12:15]// 000000004458: D3F3000C 1C3255AA
	v_mfma_f32_16x16x32_fp8_fp8 v[12:15], a[172:173], a[44:45], v[12:15]// 000000004460: D3F3000C 1C3259AC
	v_mfma_f32_16x16x32_fp8_fp8 v[12:15], a[174:175], a[46:47], v[12:15]// 000000004468: D3F3000C 1C325DAE
	v_fma_f32 v176, v8, v6, v176                               // 000000004470: D1CB00B0 06C20D08
	v_fma_f32 v177, v9, v6, v177                               // 000000004478: D1CB00B1 06C60D09
	v_fma_f32 v178, v10, v6, v178                              // 000000004480: D1CB00B2 06CA0D0A
	v_fma_f32 v179, v11, v6, v179                              // 000000004488: D1CB00B3 06CE0D0B
	v_mul_f32_dpp v4, v27, v61 row_newbcast:0 row_mask:0xf bank_mask:0xf// 000000004490: 0A087AFA FF01501B
	v_mfma_f32_16x16x32_fp8_fp8 v[8:11], a[160:161], a[48:49], 0// 000000004498: D3F30008 1A0261A0
	v_mfma_f32_16x16x32_fp8_fp8 v[8:11], a[162:163], a[50:51], v[8:11]// 0000000044A0: D3F30008 1C2265A2
	v_mfma_f32_16x16x32_fp8_fp8 v[8:11], a[164:165], a[52:53], v[8:11]// 0000000044A8: D3F30008 1C2269A4
	v_mfma_f32_16x16x32_fp8_fp8 v[8:11], a[166:167], a[54:55], v[8:11]// 0000000044B0: D3F30008 1C226DA6
	v_fma_f32 v212, v12, v6, v212                              // 0000000044B8: D1CB00D4 07520D0C
	v_fma_f32 v213, v13, v6, v213                              // 0000000044C0: D1CB00D5 07560D0D
	v_fma_f32 v214, v14, v6, v214                              // 0000000044C8: D1CB00D6 075A0D0E
	v_fma_f32 v215, v15, v6, v215                              // 0000000044D0: D1CB00D7 075E0D0F
	v_mfma_f32_16x16x32_fp8_fp8 v[12:15], a[168:169], a[48:49], 0// 0000000044D8: D3F3000C 1A0261A8
	v_mfma_f32_16x16x32_fp8_fp8 v[12:15], a[170:171], a[50:51], v[12:15]// 0000000044E0: D3F3000C 1C3265AA
	v_mfma_f32_16x16x32_fp8_fp8 v[12:15], a[172:173], a[52:53], v[12:15]// 0000000044E8: D3F3000C 1C3269AC
	v_mfma_f32_16x16x32_fp8_fp8 v[12:15], a[174:175], a[54:55], v[12:15]// 0000000044F0: D3F3000C 1C326DAE
	v_fma_f32 v180, v8, v4, v180                               // 0000000044F8: D1CB00B4 06D20908
	v_fma_f32 v181, v9, v4, v181                               // 000000004500: D1CB00B5 06D60909
	v_fma_f32 v182, v10, v4, v182                              // 000000004508: D1CB00B6 06DA090A
	v_fma_f32 v183, v11, v4, v183                              // 000000004510: D1CB00B7 06DE090B
	v_mul_f32_dpp v6, v27, v62 row_newbcast:0 row_mask:0xf bank_mask:0xf// 000000004518: 0A0C7CFA FF01501B
	v_mfma_f32_16x16x32_fp8_fp8 v[8:11], a[160:161], a[56:57], 0// 000000004520: D3F30008 1A0271A0
	v_mfma_f32_16x16x32_fp8_fp8 v[8:11], a[162:163], a[58:59], v[8:11]// 000000004528: D3F30008 1C2275A2
	v_mfma_f32_16x16x32_fp8_fp8 v[8:11], a[164:165], a[60:61], v[8:11]// 000000004530: D3F30008 1C2279A4
	v_mfma_f32_16x16x32_fp8_fp8 v[8:11], a[166:167], a[62:63], v[8:11]// 000000004538: D3F30008 1C227DA6
	v_fma_f32 v216, v12, v4, v216                              // 000000004540: D1CB00D8 0762090C
	v_fma_f32 v217, v13, v4, v217                              // 000000004548: D1CB00D9 0766090D
	v_fma_f32 v218, v14, v4, v218                              // 000000004550: D1CB00DA 076A090E
	v_fma_f32 v219, v15, v4, v219                              // 000000004558: D1CB00DB 076E090F
	v_mfma_f32_16x16x32_fp8_fp8 v[12:15], a[168:169], a[56:57], 0// 000000004560: D3F3000C 1A0271A8
	v_mfma_f32_16x16x32_fp8_fp8 v[12:15], a[170:171], a[58:59], v[12:15]// 000000004568: D3F3000C 1C3275AA
	v_mfma_f32_16x16x32_fp8_fp8 v[12:15], a[172:173], a[60:61], v[12:15]// 000000004570: D3F3000C 1C3279AC
	v_mfma_f32_16x16x32_fp8_fp8 v[12:15], a[174:175], a[62:63], v[12:15]// 000000004578: D3F3000C 1C327DAE
	v_fma_f32 v184, v8, v6, v184                               // 000000004580: D1CB00B8 06E20D08
	v_fma_f32 v185, v9, v6, v185                               // 000000004588: D1CB00B9 06E60D09
	v_fma_f32 v186, v10, v6, v186                              // 000000004590: D1CB00BA 06EA0D0A
	v_fma_f32 v187, v11, v6, v187                              // 000000004598: D1CB00BB 06EE0D0B
	v_mul_f32_dpp v4, v27, v63 row_newbcast:0 row_mask:0xf bank_mask:0xf// 0000000045A0: 0A087EFA FF01501B
	v_mfma_f32_16x16x32_fp8_fp8 v[8:11], a[160:161], a[64:65], 0// 0000000045A8: D3F30008 1A0281A0
	v_mfma_f32_16x16x32_fp8_fp8 v[8:11], a[162:163], a[66:67], v[8:11]// 0000000045B0: D3F30008 1C2285A2
	v_mfma_f32_16x16x32_fp8_fp8 v[8:11], a[164:165], a[68:69], v[8:11]// 0000000045B8: D3F30008 1C2289A4
	s_add_u32 s60, 0x180, s80                                  // 0000000045C0: 803C50FF 00000180
	s_cmp_lt_u32 s60, s81                                      // 0000000045C8: BF0A513C
	s_cselect_b32 s57, s57, 0                                  // 0000000045CC: 85398039
	s_cselect_b32 s3, s3, 0                                    // 0000000045D0: 85038003
	v_mfma_f32_16x16x32_fp8_fp8 v[8:11], a[166:167], a[70:71], v[8:11]// 0000000045D4: D3F30008 1C228DA6
	s_add_u32 s60, 0x100, s80                                  // 0000000045DC: 803C50FF 00000100
	s_cmp_lt_u32 s60, s81                                      // 0000000045E4: BF0A513C
	s_cselect_b32 s58, s58, 0                                  // 0000000045E8: 853A803A
	v_fma_f32 v220, v12, v6, v220                              // 0000000045EC: D1CB00DC 07720D0C
	v_fma_f32 v221, v13, v6, v221                              // 0000000045F4: D1CB00DD 07760D0D
	v_fma_f32 v222, v14, v6, v222                              // 0000000045FC: D1CB00DE 077A0D0E
	v_fma_f32 v223, v15, v6, v223                              // 000000004604: D1CB00DF 077E0D0F
	v_mfma_f32_16x16x32_fp8_fp8 v[12:15], a[168:169], a[64:65], 0// 00000000460C: D3F3000C 1A0281A8
	s_add_u32 s24, s58, s24                                    // 000000004614: 8018183A
	s_addc_u32 s25, 0, s25                                     // 000000004618: 82191980
	v_mfma_f32_16x16x32_fp8_fp8 v[12:15], a[170:171], a[66:67], v[12:15]// 00000000461C: D3F3000C 1C3285AA
	s_add_u32 s20, s57, s20                                    // 000000004624: 80141439
	s_addc_u32 s21, 0, s21                                     // 000000004628: 82151580
	s_add_u32 s28, s3, s28                                     // 00000000462C: 801C1C03
	s_addc_u32 s29, 0, s29                                     // 000000004630: 821D1D80
	v_mfma_f32_16x16x32_fp8_fp8 v[12:15], a[172:173], a[68:69], v[12:15]// 000000004634: D3F3000C 1C3289AC
	s_add_u32 s84, s83, s84                                    // 00000000463C: 80545453
	s_addc_u32 s85, 0, s85                                     // 000000004640: 82555580
	v_mfma_f32_16x16x32_fp8_fp8 v[12:15], a[174:175], a[70:71], v[12:15]// 000000004644: D3F3000C 1C328DAE
	v_fma_f32 v188, v8, v4, v188                               // 00000000464C: D1CB00BC 06F20908
	v_fma_f32 v189, v9, v4, v189                               // 000000004654: D1CB00BD 06F60909
	v_fma_f32 v190, v10, v4, v190                              // 00000000465C: D1CB00BE 06FA090A
	v_fma_f32 v191, v11, v4, v191                              // 000000004664: D1CB00BF 06FE090B
	v_fma_f32 v224, v12, v4, v224                              // 00000000466C: D1CB00E0 0782090C
	v_fma_f32 v225, v13, v4, v225                              // 000000004674: D1CB00E1 0786090D
	v_fma_f32 v226, v14, v4, v226                              // 00000000467C: D1CB00E2 078A090E
	v_fma_f32 v227, v15, v4, v227                              // 000000004684: D1CB00E3 078E090F
	s_addk_i32 s80, 0x80                                       // 00000000468C: B7500080
	s_cmp_lt_i32 s80, s81                                      // 000000004690: BF045150
	s_cbranch_scc0 label_0A56                                  // 000000004694: BF840330
	s_waitcnt vmcnt(2) lgkmcnt(0)                              // 000000004698: BF8C0072
	s_barrier                                                  // 00000000469C: BF8A0000
	v_mov_b32_e32 v55, v46                                     // 0000000046A0: 7E6E032E
	v_mov_b32_e32 v56, v47                                     // 0000000046A4: 7E70032F
	v_mov_b32_e32 v57, v48                                     // 0000000046A8: 7E720330
	v_mov_b32_e32 v58, v49                                     // 0000000046AC: 7E740331
	v_mov_b32_e32 v59, v50                                     // 0000000046B0: 7E760332
	v_mov_b32_e32 v60, v51                                     // 0000000046B4: 7E780333
	v_mov_b32_e32 v61, v52                                     // 0000000046B8: 7E7A0334
	v_mov_b32_e32 v62, v53                                     // 0000000046BC: 7E7C0335
	v_mov_b32_e32 v63, v54                                     // 0000000046C0: 7E7E0336
	v_mul_f32_dpp v4, v24, v55 row_newbcast:0 row_mask:0xf bank_mask:0xf// 0000000046C4: 0A086EFA FF015018
	v_mfma_f32_16x16x32_fp8_fp8 v[8:11], a[144:145], a[72:73], 0// 0000000046CC: D3F30008 1A029190
	buffer_load_dword v27, v23, s[32:35], 0 offen              // 0000000046D4: E0501000 80081B17
	v_mfma_f32_16x16x32_fp8_fp8 v[8:11], a[146:147], a[74:75], v[8:11]// 0000000046DC: D3F30008 1C229592
	buffer_load_dwordx4 a[160:163], v82, s[84:87], 0 offen     // 0000000046E4: E05C1000 8095A052
	v_mfma_f32_16x16x32_fp8_fp8 v[8:11], a[148:149], a[76:77], v[8:11]// 0000000046EC: D3F30008 1C229994
	v_mfma_f32_16x16x32_fp8_fp8 v[8:11], a[150:151], a[78:79], v[8:11]// 0000000046F4: D3F30008 1C229D96
	v_mul_f32_dpp v6, v24, v56 row_newbcast:0 row_mask:0xf bank_mask:0xf// 0000000046FC: 0A0C70FA FF015018
	v_mfma_f32_16x16x32_fp8_fp8 v[12:15], a[144:145], a[80:81], 0// 000000004704: D3F3000C 1A02A190
	v_mfma_f32_16x16x32_fp8_fp8 v[12:15], a[146:147], a[82:83], v[12:15]// 00000000470C: D3F3000C 1C32A592
	buffer_load_dwordx4 a[164:167], v82, s[84:87], 0 offen offset:1024// 000000004714: E05C1400 8095A452
	v_mfma_f32_16x16x32_fp8_fp8 v[12:15], a[148:149], a[84:85], v[12:15]// 00000000471C: D3F3000C 1C32A994
	v_mfma_f32_16x16x32_fp8_fp8 v[12:15], a[150:151], a[86:87], v[12:15]// 000000004724: D3F3000C 1C32AD96
	v_fma_f32 v84, v8, v4, v84                                 // 00000000472C: D1CB0054 05520908
	v_fma_f32 v85, v9, v4, v85                                 // 000000004734: D1CB0055 05560909
	v_fma_f32 v86, v10, v4, v86                                // 00000000473C: D1CB0056 055A090A
	v_fma_f32 v87, v11, v4, v87                                // 000000004744: D1CB0057 055E090B
	v_mul_f32_dpp v4, v24, v57 row_newbcast:0 row_mask:0xf bank_mask:0xf// 00000000474C: 0A0872FA FF015018
	v_mfma_f32_16x16x32_fp8_fp8 v[8:11], a[144:145], a[88:89], 0// 000000004754: D3F30008 1A02B190
	v_mfma_f32_16x16x32_fp8_fp8 v[8:11], a[146:147], a[90:91], v[8:11]// 00000000475C: D3F30008 1C22B592
	buffer_load_dwordx4 a[168:171], v83, s[84:87], 0 offen     // 000000004764: E05C1000 8095A853
	v_mfma_f32_16x16x32_fp8_fp8 v[8:11], a[148:149], a[92:93], v[8:11]// 00000000476C: D3F30008 1C22B994
	v_mfma_f32_16x16x32_fp8_fp8 v[8:11], a[150:151], a[94:95], v[8:11]// 000000004774: D3F30008 1C22BD96
	v_fma_f32 v88, v12, v6, v88                                // 00000000477C: D1CB0058 05620D0C
	v_fma_f32 v89, v13, v6, v89                                // 000000004784: D1CB0059 05660D0D
	v_fma_f32 v90, v14, v6, v90                                // 00000000478C: D1CB005A 056A0D0E
	v_fma_f32 v91, v15, v6, v91                                // 000000004794: D1CB005B 056E0D0F
	v_mul_f32_dpp v6, v24, v58 row_newbcast:0 row_mask:0xf bank_mask:0xf// 00000000479C: 0A0C74FA FF015018
	v_mfma_f32_16x16x32_fp8_fp8 v[12:15], a[144:145], a[96:97], 0// 0000000047A4: D3F3000C 1A02C190
	v_mfma_f32_16x16x32_fp8_fp8 v[12:15], a[146:147], a[98:99], v[12:15]// 0000000047AC: D3F3000C 1C32C592
	buffer_load_dwordx4 a[172:175], v83, s[84:87], 0 offen offset:1024// 0000000047B4: E05C1400 8095AC53
	buffer_load_dword v64, s[20:23], 0 offen lds               // 0000000047BC: E0511000 80050040
	s_add_u32 m0, 0x100, s49                                   // 0000000047C4: 807C31FF 00000100
	v_mfma_f32_16x16x32_fp8_fp8 v[12:15], a[148:149], a[100:101], v[12:15]// 0000000047CC: D3F3000C 1C32C994
	v_mfma_f32_16x16x32_fp8_fp8 v[12:15], a[150:151], a[102:103], v[12:15]// 0000000047D4: D3F3000C 1C32CD96
	buffer_load_dword v65, s[20:23], 0 offen lds               // 0000000047DC: E0511000 80050041
	s_add_u32 m0, 0x200, s49                                   // 0000000047E4: 807C31FF 00000200
	v_fma_f32 v92, v8, v4, v92                                 // 0000000047EC: D1CB005C 05720908
	v_fma_f32 v93, v9, v4, v93                                 // 0000000047F4: D1CB005D 05760909
	v_fma_f32 v94, v10, v4, v94                                // 0000000047FC: D1CB005E 057A090A
	v_fma_f32 v95, v11, v4, v95                                // 000000004804: D1CB005F 057E090B
	v_mul_f32_dpp v4, v24, v59 row_newbcast:0 row_mask:0xf bank_mask:0xf// 00000000480C: 0A0876FA FF015018
	v_mfma_f32_16x16x32_fp8_fp8 v[8:11], a[144:145], a[104:105], 0// 000000004814: D3F30008 1A02D190
	v_mfma_f32_16x16x32_fp8_fp8 v[8:11], a[146:147], a[106:107], v[8:11]// 00000000481C: D3F30008 1C22D592
	buffer_load_dword v66, s[20:23], 0 offen lds               // 000000004824: E0511000 80050042
	s_add_u32 m0, 0x300, s49                                   // 00000000482C: 807C31FF 00000300
	v_mfma_f32_16x16x32_fp8_fp8 v[8:11], a[148:149], a[108:109], v[8:11]// 000000004834: D3F30008 1C22D994
	v_mfma_f32_16x16x32_fp8_fp8 v[8:11], a[150:151], a[110:111], v[8:11]// 00000000483C: D3F30008 1C22DD96
	buffer_load_dword v67, s[20:23], 0 offen lds               // 000000004844: E0511000 80050043
	s_add_u32 m0, 0x400, s49                                   // 00000000484C: 807C31FF 00000400
	v_fma_f32 v96, v12, v6, v96                                // 000000004854: D1CB0060 05820D0C
	v_fma_f32 v97, v13, v6, v97                                // 00000000485C: D1CB0061 05860D0D
	v_fma_f32 v98, v14, v6, v98                                // 000000004864: D1CB0062 058A0D0E
	v_fma_f32 v99, v15, v6, v99                                // 00000000486C: D1CB0063 058E0D0F
	v_mul_f32_dpp v6, v24, v60 row_newbcast:0 row_mask:0xf bank_mask:0xf// 000000004874: 0A0C78FA FF015018
	v_mfma_f32_16x16x32_fp8_fp8 v[12:15], a[144:145], a[112:113], 0// 00000000487C: D3F3000C 1A02E190
	v_mfma_f32_16x16x32_fp8_fp8 v[12:15], a[146:147], a[114:115], v[12:15]// 000000004884: D3F3000C 1C32E592
	buffer_load_dword v68, s[20:23], 0 offen lds               // 00000000488C: E0511000 80050044
	s_add_u32 m0, 0x500, s49                                   // 000000004894: 807C31FF 00000500
	v_mfma_f32_16x16x32_fp8_fp8 v[12:15], a[148:149], a[116:117], v[12:15]// 00000000489C: D3F3000C 1C32E994
	v_mfma_f32_16x16x32_fp8_fp8 v[12:15], a[150:151], a[118:119], v[12:15]// 0000000048A4: D3F3000C 1C32ED96
	buffer_load_dword v69, s[20:23], 0 offen lds               // 0000000048AC: E0511000 80050045
	s_add_u32 m0, 0x600, s49                                   // 0000000048B4: 807C31FF 00000600
	v_fma_f32 v100, v8, v4, v100                               // 0000000048BC: D1CB0064 05920908
	v_fma_f32 v101, v9, v4, v101                               // 0000000048C4: D1CB0065 05960909
	v_fma_f32 v102, v10, v4, v102                              // 0000000048CC: D1CB0066 059A090A
	v_fma_f32 v103, v11, v4, v103                              // 0000000048D4: D1CB0067 059E090B
	v_mul_f32_dpp v4, v24, v61 row_newbcast:0 row_mask:0xf bank_mask:0xf// 0000000048DC: 0A087AFA FF015018
	v_mfma_f32_16x16x32_fp8_fp8 v[8:11], a[144:145], a[120:121], 0// 0000000048E4: D3F30008 1A02F190
	v_mfma_f32_16x16x32_fp8_fp8 v[8:11], a[146:147], a[122:123], v[8:11]// 0000000048EC: D3F30008 1C22F592
	buffer_load_dword v70, s[20:23], 0 offen lds               // 0000000048F4: E0511000 80050046
	s_add_u32 m0, 0x700, s49                                   // 0000000048FC: 807C31FF 00000700
	v_mfma_f32_16x16x32_fp8_fp8 v[8:11], a[148:149], a[124:125], v[8:11]// 000000004904: D3F30008 1C22F994
	v_mfma_f32_16x16x32_fp8_fp8 v[8:11], a[150:151], a[126:127], v[8:11]// 00000000490C: D3F30008 1C22FD96
	buffer_load_dword v71, s[20:23], 0 offen lds               // 000000004914: E0511000 80050047
	s_add_u32 m0, 0x800, s49                                   // 00000000491C: 807C31FF 00000800
	v_fma_f32 v104, v12, v6, v104                              // 000000004924: D1CB0068 05A20D0C
	v_fma_f32 v105, v13, v6, v105                              // 00000000492C: D1CB0069 05A60D0D
	v_fma_f32 v106, v14, v6, v106                              // 000000004934: D1CB006A 05AA0D0E
	v_fma_f32 v107, v15, v6, v107                              // 00000000493C: D1CB006B 05AE0D0F
	v_mul_f32_dpp v6, v24, v62 row_newbcast:0 row_mask:0xf bank_mask:0xf// 000000004944: 0A0C7CFA FF015018
	v_mfma_f32_16x16x32_fp8_fp8 v[12:15], a[144:145], a[128:129], 0// 00000000494C: D3F3000C 1A030190
	v_mfma_f32_16x16x32_fp8_fp8 v[12:15], a[146:147], a[130:131], v[12:15]// 000000004954: D3F3000C 1C330592
	buffer_load_dword v72, s[20:23], 0 offen lds               // 00000000495C: E0511000 80050048
	s_add_u32 m0, 0x900, s49                                   // 000000004964: 807C31FF 00000900
	v_mfma_f32_16x16x32_fp8_fp8 v[12:15], a[148:149], a[132:133], v[12:15]// 00000000496C: D3F3000C 1C330994
	v_mfma_f32_16x16x32_fp8_fp8 v[12:15], a[150:151], a[134:135], v[12:15]// 000000004974: D3F3000C 1C330D96
	buffer_load_dword v73, s[20:23], 0 offen lds               // 00000000497C: E0511000 80050049
	s_add_u32 m0, 0xa00, s49                                   // 000000004984: 807C31FF 00000A00
	v_fma_f32 v108, v8, v4, v108                               // 00000000498C: D1CB006C 05B20908
	v_fma_f32 v109, v9, v4, v109                               // 000000004994: D1CB006D 05B60909
	v_fma_f32 v110, v10, v4, v110                              // 00000000499C: D1CB006E 05BA090A
	v_fma_f32 v111, v11, v4, v111                              // 0000000049A4: D1CB006F 05BE090B
	v_mul_f32_dpp v4, v24, v63 row_newbcast:0 row_mask:0xf bank_mask:0xf// 0000000049AC: 0A087EFA FF015018
	v_mfma_f32_16x16x32_fp8_fp8 v[8:11], a[144:145], a[136:137], 0// 0000000049B4: D3F30008 1A031190
	v_mfma_f32_16x16x32_fp8_fp8 v[8:11], a[146:147], a[138:139], v[8:11]// 0000000049BC: D3F30008 1C231592
	buffer_load_dword v74, s[20:23], 0 offen lds               // 0000000049C4: E0511000 8005004A
	s_add_u32 m0, 0xb00, s49                                   // 0000000049CC: 807C31FF 00000B00
	v_mfma_f32_16x16x32_fp8_fp8 v[8:11], a[148:149], a[140:141], v[8:11]// 0000000049D4: D3F30008 1C231994
	v_mfma_f32_16x16x32_fp8_fp8 v[8:11], a[150:151], a[142:143], v[8:11]// 0000000049DC: D3F30008 1C231D96
	buffer_load_dword v75, s[20:23], 0 offen lds               // 0000000049E4: E0511000 8005004B
	s_add_u32 m0, 0xc00, s49                                   // 0000000049EC: 807C31FF 00000C00
	v_fma_f32 v112, v12, v6, v112                              // 0000000049F4: D1CB0070 05C20D0C
	v_fma_f32 v113, v13, v6, v113                              // 0000000049FC: D1CB0071 05C60D0D
	v_fma_f32 v114, v14, v6, v114                              // 000000004A04: D1CB0072 05CA0D0E
	v_fma_f32 v115, v15, v6, v115                              // 000000004A0C: D1CB0073 05CE0D0F
	s_waitcnt vmcnt(17)                                        // 000000004A14: BF8C4F71
	v_mul_f32_dpp v6, v24, v55 row_newbcast:0 row_mask:0xf bank_mask:0xf// 000000004A18: 0A0C6EFA FF015018
	v_mfma_f32_16x16x32_fp8_fp8 v[12:15], a[152:153], a[72:73], 0// 000000004A20: D3F3000C 1A029198
	v_mfma_f32_16x16x32_fp8_fp8 v[12:15], a[154:155], a[74:75], v[12:15]// 000000004A28: D3F3000C 1C32959A
	buffer_load_dword v76, s[20:23], 0 offen lds               // 000000004A30: E0511000 8005004C
	s_add_u32 m0, 0xd00, s49                                   // 000000004A38: 807C31FF 00000D00
	v_mfma_f32_16x16x32_fp8_fp8 v[12:15], a[156:157], a[76:77], v[12:15]// 000000004A40: D3F3000C 1C32999C
	v_mfma_f32_16x16x32_fp8_fp8 v[12:15], a[158:159], a[78:79], v[12:15]// 000000004A48: D3F3000C 1C329D9E
	buffer_load_dword v77, s[20:23], 0 offen lds               // 000000004A50: E0511000 8005004D
	s_add_u32 m0, 0xe00, s49                                   // 000000004A58: 807C31FF 00000E00
	v_fma_f32 v116, v8, v4, v116                               // 000000004A60: D1CB0074 05D20908
	v_fma_f32 v117, v9, v4, v117                               // 000000004A68: D1CB0075 05D60909
	v_fma_f32 v118, v10, v4, v118                              // 000000004A70: D1CB0076 05DA090A
	v_fma_f32 v119, v11, v4, v119                              // 000000004A78: D1CB0077 05DE090B
	v_mul_f32_dpp v4, v24, v56 row_newbcast:0 row_mask:0xf bank_mask:0xf// 000000004A80: 0A0870FA FF015018
	v_mfma_f32_16x16x32_fp8_fp8 v[8:11], a[152:153], a[80:81], 0// 000000004A88: D3F30008 1A02A198
	v_mfma_f32_16x16x32_fp8_fp8 v[8:11], a[154:155], a[82:83], v[8:11]// 000000004A90: D3F30008 1C22A59A
	buffer_load_dword v78, s[20:23], 0 offen lds               // 000000004A98: E0511000 8005004E
	s_add_u32 m0, 0xf00, s49                                   // 000000004AA0: 807C31FF 00000F00
	v_mfma_f32_16x16x32_fp8_fp8 v[8:11], a[156:157], a[84:85], v[8:11]// 000000004AA8: D3F30008 1C22A99C
	v_mfma_f32_16x16x32_fp8_fp8 v[8:11], a[158:159], a[86:87], v[8:11]// 000000004AB0: D3F30008 1C22AD9E
	buffer_load_dword v79, s[20:23], 0 offen lds               // 000000004AB8: E0511000 8005004F
	s_add_u32 m0, 0x1000, s49                                  // 000000004AC0: 807C31FF 00001000
	v_fma_f32 v120, v12, v6, v120                              // 000000004AC8: D1CB0078 05E20D0C
	v_fma_f32 v121, v13, v6, v121                              // 000000004AD0: D1CB0079 05E60D0D
	v_fma_f32 v122, v14, v6, v122                              // 000000004AD8: D1CB007A 05EA0D0E
	v_fma_f32 v123, v15, v6, v123                              // 000000004AE0: D1CB007B 05EE0D0F
	v_mul_f32_dpp v6, v24, v57 row_newbcast:0 row_mask:0xf bank_mask:0xf// 000000004AE8: 0A0C72FA FF015018
	v_mfma_f32_16x16x32_fp8_fp8 v[12:15], a[152:153], a[88:89], 0// 000000004AF0: D3F3000C 1A02B198
	v_mfma_f32_16x16x32_fp8_fp8 v[12:15], a[154:155], a[90:91], v[12:15]// 000000004AF8: D3F3000C 1C32B59A
	buffer_load_dword v80, s[20:23], 0 offen lds               // 000000004B00: E0511000 80050050
	s_add_u32 m0, 0x1100, s49                                  // 000000004B08: 807C31FF 00001100
	v_mfma_f32_16x16x32_fp8_fp8 v[12:15], a[156:157], a[92:93], v[12:15]// 000000004B10: D3F3000C 1C32B99C
	v_mfma_f32_16x16x32_fp8_fp8 v[12:15], a[158:159], a[94:95], v[12:15]// 000000004B18: D3F3000C 1C32BD9E
	buffer_load_dword v81, s[20:23], 0 offen lds               // 000000004B20: E0511000 80050051
	s_add_u32 m0, 0, s48                                       // 000000004B28: 807C3080
	v_fma_f32 v124, v8, v4, v124                               // 000000004B2C: D1CB007C 05F20908
	v_fma_f32 v125, v9, v4, v125                               // 000000004B34: D1CB007D 05F60909
	v_fma_f32 v126, v10, v4, v126                              // 000000004B3C: D1CB007E 05FA090A
	v_fma_f32 v127, v11, v4, v127                              // 000000004B44: D1CB007F 05FE090B
	v_mul_f32_dpp v4, v24, v58 row_newbcast:0 row_mask:0xf bank_mask:0xf// 000000004B4C: 0A0874FA FF015018
	v_mfma_f32_16x16x32_fp8_fp8 v[8:11], a[152:153], a[96:97], 0// 000000004B54: D3F30008 1A02C198
	v_mfma_f32_16x16x32_fp8_fp8 v[8:11], a[154:155], a[98:99], v[8:11]// 000000004B5C: D3F30008 1C22C59A
	buffer_load_dword v46, v28, s[28:31], 0 offen              // 000000004B64: E0501000 80072E1C
	v_mfma_f32_16x16x32_fp8_fp8 v[8:11], a[156:157], a[100:101], v[8:11]// 000000004B6C: D3F30008 1C22C99C
	v_mfma_f32_16x16x32_fp8_fp8 v[8:11], a[158:159], a[102:103], v[8:11]// 000000004B74: D3F30008 1C22CD9E
	buffer_load_dword v47, v29, s[28:31], 0 offen              // 000000004B7C: E0501000 80072F1D
	v_fma_f32 v128, v12, v6, v128                              // 000000004B84: D1CB0080 06020D0C
	v_fma_f32 v129, v13, v6, v129                              // 000000004B8C: D1CB0081 06060D0D
	v_fma_f32 v130, v14, v6, v130                              // 000000004B94: D1CB0082 060A0D0E
	v_fma_f32 v131, v15, v6, v131                              // 000000004B9C: D1CB0083 060E0D0F
	v_mul_f32_dpp v6, v24, v59 row_newbcast:0 row_mask:0xf bank_mask:0xf// 000000004BA4: 0A0C76FA FF015018
	v_mfma_f32_16x16x32_fp8_fp8 v[12:15], a[152:153], a[104:105], 0// 000000004BAC: D3F3000C 1A02D198
	v_mfma_f32_16x16x32_fp8_fp8 v[12:15], a[154:155], a[106:107], v[12:15]// 000000004BB4: D3F3000C 1C32D59A
	buffer_load_dword v48, v30, s[28:31], 0 offen              // 000000004BBC: E0501000 8007301E
	v_mfma_f32_16x16x32_fp8_fp8 v[12:15], a[156:157], a[108:109], v[12:15]// 000000004BC4: D3F3000C 1C32D99C
	v_mfma_f32_16x16x32_fp8_fp8 v[12:15], a[158:159], a[110:111], v[12:15]// 000000004BCC: D3F3000C 1C32DD9E
	buffer_load_dword v49, v31, s[28:31], 0 offen              // 000000004BD4: E0501000 8007311F
	v_fma_f32 v132, v8, v4, v132                               // 000000004BDC: D1CB0084 06120908
	v_fma_f32 v133, v9, v4, v133                               // 000000004BE4: D1CB0085 06160909
	v_fma_f32 v134, v10, v4, v134                              // 000000004BEC: D1CB0086 061A090A
	v_fma_f32 v135, v11, v4, v135                              // 000000004BF4: D1CB0087 061E090B
	v_mul_f32_dpp v4, v24, v60 row_newbcast:0 row_mask:0xf bank_mask:0xf// 000000004BFC: 0A0878FA FF015018
	v_mfma_f32_16x16x32_fp8_fp8 v[8:11], a[152:153], a[112:113], 0// 000000004C04: D3F30008 1A02E198
	v_mfma_f32_16x16x32_fp8_fp8 v[8:11], a[154:155], a[114:115], v[8:11]// 000000004C0C: D3F30008 1C22E59A
	buffer_load_dword v50, v32, s[28:31], 0 offen              // 000000004C14: E0501000 80073220
	v_mfma_f32_16x16x32_fp8_fp8 v[8:11], a[156:157], a[116:117], v[8:11]// 000000004C1C: D3F30008 1C22E99C
	v_mfma_f32_16x16x32_fp8_fp8 v[8:11], a[158:159], a[118:119], v[8:11]// 000000004C24: D3F30008 1C22ED9E
	buffer_load_dword v51, v33, s[28:31], 0 offen              // 000000004C2C: E0501000 80073321
	v_fma_f32 v136, v12, v6, v136                              // 000000004C34: D1CB0088 06220D0C
	v_fma_f32 v137, v13, v6, v137                              // 000000004C3C: D1CB0089 06260D0D
	v_fma_f32 v138, v14, v6, v138                              // 000000004C44: D1CB008A 062A0D0E
	v_fma_f32 v139, v15, v6, v139                              // 000000004C4C: D1CB008B 062E0D0F
	v_mul_f32_dpp v6, v24, v61 row_newbcast:0 row_mask:0xf bank_mask:0xf// 000000004C54: 0A0C7AFA FF015018
	v_mfma_f32_16x16x32_fp8_fp8 v[12:15], a[152:153], a[120:121], 0// 000000004C5C: D3F3000C 1A02F198
	v_mfma_f32_16x16x32_fp8_fp8 v[12:15], a[154:155], a[122:123], v[12:15]// 000000004C64: D3F3000C 1C32F59A
	buffer_load_dword v52, v34, s[28:31], 0 offen              // 000000004C6C: E0501000 80073422
	v_mfma_f32_16x16x32_fp8_fp8 v[12:15], a[156:157], a[124:125], v[12:15]// 000000004C74: D3F3000C 1C32F99C
	v_mfma_f32_16x16x32_fp8_fp8 v[12:15], a[158:159], a[126:127], v[12:15]// 000000004C7C: D3F3000C 1C32FD9E
	buffer_load_dword v53, v35, s[28:31], 0 offen              // 000000004C84: E0501000 80073523
	v_fma_f32 v140, v8, v4, v140                               // 000000004C8C: D1CB008C 06320908
	v_fma_f32 v141, v9, v4, v141                               // 000000004C94: D1CB008D 06360909
	v_fma_f32 v142, v10, v4, v142                              // 000000004C9C: D1CB008E 063A090A
	v_fma_f32 v143, v11, v4, v143                              // 000000004CA4: D1CB008F 063E090B
	v_mul_f32_dpp v4, v24, v62 row_newbcast:0 row_mask:0xf bank_mask:0xf// 000000004CAC: 0A087CFA FF015018
	v_mfma_f32_16x16x32_fp8_fp8 v[8:11], a[152:153], a[128:129], 0// 000000004CB4: D3F30008 1A030198
	v_mfma_f32_16x16x32_fp8_fp8 v[8:11], a[154:155], a[130:131], v[8:11]// 000000004CBC: D3F30008 1C23059A
	buffer_load_dword v54, v36, s[28:31], 0 offen              // 000000004CC4: E0501000 80073624
	v_mfma_f32_16x16x32_fp8_fp8 v[8:11], a[156:157], a[132:133], v[8:11]// 000000004CCC: D3F30008 1C23099C
	v_mfma_f32_16x16x32_fp8_fp8 v[8:11], a[158:159], a[134:135], v[8:11]// 000000004CD4: D3F30008 1C230D9E
	v_fma_f32 v144, v12, v6, v144                              // 000000004CDC: D1CB0090 06420D0C
	v_fma_f32 v145, v13, v6, v145                              // 000000004CE4: D1CB0091 06460D0D
	v_fma_f32 v146, v14, v6, v146                              // 000000004CEC: D1CB0092 064A0D0E
	v_fma_f32 v147, v15, v6, v147                              // 000000004CF4: D1CB0093 064E0D0F
	v_mul_f32_dpp v6, v24, v63 row_newbcast:0 row_mask:0xf bank_mask:0xf// 000000004CFC: 0A0C7EFA FF015018
	v_mfma_f32_16x16x32_fp8_fp8 v[12:15], a[152:153], a[136:137], 0// 000000004D04: D3F3000C 1A031198
	v_mfma_f32_16x16x32_fp8_fp8 v[12:15], a[154:155], a[138:139], v[12:15]// 000000004D0C: D3F3000C 1C33159A
	s_add_u32 s60, 0x80, s80                                   // 000000004D14: 803C50FF 00000080
	s_cmp_lt_u32 s60, s81                                      // 000000004D1C: BF0A513C
	s_cselect_b32 s83, s83, 0                                  // 000000004D20: 85538053
	s_cselect_b32 s4, s4, 0                                    // 000000004D24: 85048004
	v_mfma_f32_16x16x32_fp8_fp8 v[12:15], a[156:157], a[140:141], v[12:15]// 000000004D28: D3F3000C 1C33199C
	s_add_u32 s32, s4, s32                                     // 000000004D30: 80202004
	s_addc_u32 s33, 0, s33                                     // 000000004D34: 82212180
	v_mfma_f32_16x16x32_fp8_fp8 v[12:15], a[158:159], a[142:143], v[12:15]// 000000004D38: D3F3000C 1C331D9E
	v_fma_f32 v148, v8, v4, v148                               // 000000004D40: D1CB0094 06520908
	v_fma_f32 v149, v9, v4, v149                               // 000000004D48: D1CB0095 06560909
	v_fma_f32 v150, v10, v4, v150                              // 000000004D50: D1CB0096 065A090A
	v_fma_f32 v151, v11, v4, v151                              // 000000004D58: D1CB0097 065E090B
	v_fma_f32 v152, v12, v6, v152                              // 000000004D60: D1CB0098 06620D0C
	v_fma_f32 v153, v13, v6, v153                              // 000000004D68: D1CB0099 06660D0D
	v_fma_f32 v154, v14, v6, v154                              // 000000004D70: D1CB009A 066A0D0E
	v_fma_f32 v155, v15, v6, v155                              // 000000004D78: D1CB009B 066E0D0F
	s_waitcnt vmcnt(27)                                        // 000000004D80: BF8C4F7B
	v_mul_f32_dpp v4, v27, v55 row_newbcast:0 row_mask:0xf bank_mask:0xf// 000000004D84: 0A086EFA FF01501B
	v_mfma_f32_16x16x32_fp8_fp8 v[8:11], a[160:161], a[72:73], 0// 000000004D8C: D3F30008 1A0291A0
	buffer_load_dword v24, v22, s[32:35], 0 offen              // 000000004D94: E0501000 80081816
	v_mfma_f32_16x16x32_fp8_fp8 v[8:11], a[162:163], a[74:75], v[8:11]// 000000004D9C: D3F30008 1C2295A2
	buffer_load_dwordx4 a[144:147], v82, s[24:27], 0 offen     // 000000004DA4: E05C1000 80869052
	v_mfma_f32_16x16x32_fp8_fp8 v[8:11], a[164:165], a[76:77], v[8:11]// 000000004DAC: D3F30008 1C2299A4
	v_mfma_f32_16x16x32_fp8_fp8 v[8:11], a[166:167], a[78:79], v[8:11]// 000000004DB4: D3F30008 1C229DA6
	ds_read_b128 a[0:3], v2                                    // 000000004DBC: DBFE0000 00000002
	ds_read_b128 a[4:7], v2 offset:64                          // 000000004DC4: DBFE0040 04000002
	v_mfma_f32_16x16x32_fp8_fp8 v[12:15], a[168:169], a[72:73], 0// 000000004DCC: D3F3000C 1A0291A8
	v_mfma_f32_16x16x32_fp8_fp8 v[12:15], a[170:171], a[74:75], v[12:15]// 000000004DD4: D3F3000C 1C3295AA
	buffer_load_dwordx4 a[148:151], v82, s[24:27], 0 offen offset:1024// 000000004DDC: E05C1400 80869452
	v_mfma_f32_16x16x32_fp8_fp8 v[12:15], a[172:173], a[76:77], v[12:15]// 000000004DE4: D3F3000C 1C3299AC
	v_mfma_f32_16x16x32_fp8_fp8 v[12:15], a[174:175], a[78:79], v[12:15]// 000000004DEC: D3F3000C 1C329DAE
	ds_read_b128 a[8:11], v2 offset:512                        // 000000004DF4: DBFE0200 08000002
	ds_read_b128 a[12:15], v2 offset:576                       // 000000004DFC: DBFE0240 0C000002
	v_fma_f32 v156, v8, v4, v156                               // 000000004E04: D1CB009C 06720908
	v_fma_f32 v157, v9, v4, v157                               // 000000004E0C: D1CB009D 06760909
	v_fma_f32 v158, v10, v4, v158                              // 000000004E14: D1CB009E 067A090A
	v_fma_f32 v159, v11, v4, v159                              // 000000004E1C: D1CB009F 067E090B
	v_mul_f32_dpp v6, v27, v56 row_newbcast:0 row_mask:0xf bank_mask:0xf// 000000004E24: 0A0C70FA FF01501B
	v_mfma_f32_16x16x32_fp8_fp8 v[8:11], a[160:161], a[80:81], 0// 000000004E2C: D3F30008 1A02A1A0
	v_mfma_f32_16x16x32_fp8_fp8 v[8:11], a[162:163], a[82:83], v[8:11]// 000000004E34: D3F30008 1C22A5A2
	buffer_load_dwordx4 a[152:155], v83, s[24:27], 0 offen     // 000000004E3C: E05C1000 80869853
	v_mfma_f32_16x16x32_fp8_fp8 v[8:11], a[164:165], a[84:85], v[8:11]// 000000004E44: D3F30008 1C22A9A4
	v_mfma_f32_16x16x32_fp8_fp8 v[8:11], a[166:167], a[86:87], v[8:11]// 000000004E4C: D3F30008 1C22ADA6
	ds_read_b128 a[16:19], v2 offset:1024                      // 000000004E54: DBFE0400 10000002
	ds_read_b128 a[20:23], v2 offset:1088                      // 000000004E5C: DBFE0440 14000002
	v_fma_f32 v192, v12, v4, v192                              // 000000004E64: D1CB00C0 0702090C
	v_fma_f32 v193, v13, v4, v193                              // 000000004E6C: D1CB00C1 0706090D
	v_fma_f32 v194, v14, v4, v194                              // 000000004E74: D1CB00C2 070A090E
	v_fma_f32 v195, v15, v4, v195                              // 000000004E7C: D1CB00C3 070E090F
	v_mfma_f32_16x16x32_fp8_fp8 v[12:15], a[168:169], a[80:81], 0// 000000004E84: D3F3000C 1A02A1A8
	v_mfma_f32_16x16x32_fp8_fp8 v[12:15], a[170:171], a[82:83], v[12:15]// 000000004E8C: D3F3000C 1C32A5AA
	buffer_load_dwordx4 a[156:159], v83, s[24:27], 0 offen offset:1024// 000000004E94: E05C1400 80869C53
	v_mfma_f32_16x16x32_fp8_fp8 v[12:15], a[172:173], a[84:85], v[12:15]// 000000004E9C: D3F3000C 1C32A9AC
	v_mfma_f32_16x16x32_fp8_fp8 v[12:15], a[174:175], a[86:87], v[12:15]// 000000004EA4: D3F3000C 1C32ADAE
	ds_read_b128 a[24:27], v2 offset:1536                      // 000000004EAC: DBFE0600 18000002
	ds_read_b128 a[28:31], v2 offset:1600                      // 000000004EB4: DBFE0640 1C000002
	v_fma_f32 v160, v8, v6, v160                               // 000000004EBC: D1CB00A0 06820D08
	v_fma_f32 v161, v9, v6, v161                               // 000000004EC4: D1CB00A1 06860D09
	v_fma_f32 v162, v10, v6, v162                              // 000000004ECC: D1CB00A2 068A0D0A
	v_fma_f32 v163, v11, v6, v163                              // 000000004ED4: D1CB00A3 068E0D0B
	v_mul_f32_dpp v4, v27, v57 row_newbcast:0 row_mask:0xf bank_mask:0xf// 000000004EDC: 0A0872FA FF01501B
	v_mfma_f32_16x16x32_fp8_fp8 v[8:11], a[160:161], a[88:89], 0// 000000004EE4: D3F30008 1A02B1A0
	v_mfma_f32_16x16x32_fp8_fp8 v[8:11], a[162:163], a[90:91], v[8:11]// 000000004EEC: D3F30008 1C22B5A2
	v_mfma_f32_16x16x32_fp8_fp8 v[8:11], a[164:165], a[92:93], v[8:11]// 000000004EF4: D3F30008 1C22B9A4
	v_mfma_f32_16x16x32_fp8_fp8 v[8:11], a[166:167], a[94:95], v[8:11]// 000000004EFC: D3F30008 1C22BDA6
	ds_read_b128 a[32:35], v2 offset:2048                      // 000000004F04: DBFE0800 20000002
	ds_read_b128 a[36:39], v2 offset:2112                      // 000000004F0C: DBFE0840 24000002
	v_fma_f32 v196, v12, v6, v196                              // 000000004F14: D1CB00C4 07120D0C
	v_fma_f32 v197, v13, v6, v197                              // 000000004F1C: D1CB00C5 07160D0D
	v_fma_f32 v198, v14, v6, v198                              // 000000004F24: D1CB00C6 071A0D0E
	v_fma_f32 v199, v15, v6, v199                              // 000000004F2C: D1CB00C7 071E0D0F
	v_mfma_f32_16x16x32_fp8_fp8 v[12:15], a[168:169], a[88:89], 0// 000000004F34: D3F3000C 1A02B1A8
	v_mfma_f32_16x16x32_fp8_fp8 v[12:15], a[170:171], a[90:91], v[12:15]// 000000004F3C: D3F3000C 1C32B5AA
	v_mfma_f32_16x16x32_fp8_fp8 v[12:15], a[172:173], a[92:93], v[12:15]// 000000004F44: D3F3000C 1C32B9AC
	v_mfma_f32_16x16x32_fp8_fp8 v[12:15], a[174:175], a[94:95], v[12:15]// 000000004F4C: D3F3000C 1C32BDAE
	ds_read_b128 a[40:43], v2 offset:2560                      // 000000004F54: DBFE0A00 28000002
	ds_read_b128 a[44:47], v2 offset:2624                      // 000000004F5C: DBFE0A40 2C000002
	v_fma_f32 v164, v8, v4, v164                               // 000000004F64: D1CB00A4 06920908
	v_fma_f32 v165, v9, v4, v165                               // 000000004F6C: D1CB00A5 06960909
	v_fma_f32 v166, v10, v4, v166                              // 000000004F74: D1CB00A6 069A090A
	v_fma_f32 v167, v11, v4, v167                              // 000000004F7C: D1CB00A7 069E090B
	v_mul_f32_dpp v6, v27, v58 row_newbcast:0 row_mask:0xf bank_mask:0xf// 000000004F84: 0A0C74FA FF01501B
	v_mfma_f32_16x16x32_fp8_fp8 v[8:11], a[160:161], a[96:97], 0// 000000004F8C: D3F30008 1A02C1A0
	v_mfma_f32_16x16x32_fp8_fp8 v[8:11], a[162:163], a[98:99], v[8:11]// 000000004F94: D3F30008 1C22C5A2
	v_mfma_f32_16x16x32_fp8_fp8 v[8:11], a[164:165], a[100:101], v[8:11]// 000000004F9C: D3F30008 1C22C9A4
	v_mfma_f32_16x16x32_fp8_fp8 v[8:11], a[166:167], a[102:103], v[8:11]// 000000004FA4: D3F30008 1C22CDA6
	ds_read_b128 a[48:51], v2 offset:3072                      // 000000004FAC: DBFE0C00 30000002
	ds_read_b128 a[52:55], v2 offset:3136                      // 000000004FB4: DBFE0C40 34000002
	v_fma_f32 v200, v12, v4, v200                              // 000000004FBC: D1CB00C8 0722090C
	v_fma_f32 v201, v13, v4, v201                              // 000000004FC4: D1CB00C9 0726090D
	v_fma_f32 v202, v14, v4, v202                              // 000000004FCC: D1CB00CA 072A090E
	v_fma_f32 v203, v15, v4, v203                              // 000000004FD4: D1CB00CB 072E090F
	v_mfma_f32_16x16x32_fp8_fp8 v[12:15], a[168:169], a[96:97], 0// 000000004FDC: D3F3000C 1A02C1A8
	v_mfma_f32_16x16x32_fp8_fp8 v[12:15], a[170:171], a[98:99], v[12:15]// 000000004FE4: D3F3000C 1C32C5AA
	v_mfma_f32_16x16x32_fp8_fp8 v[12:15], a[172:173], a[100:101], v[12:15]// 000000004FEC: D3F3000C 1C32C9AC
	v_mfma_f32_16x16x32_fp8_fp8 v[12:15], a[174:175], a[102:103], v[12:15]// 000000004FF4: D3F3000C 1C32CDAE
	ds_read_b128 a[56:59], v2 offset:3584                      // 000000004FFC: DBFE0E00 38000002
	ds_read_b128 a[60:63], v2 offset:3648                      // 000000005004: DBFE0E40 3C000002
	v_fma_f32 v168, v8, v6, v168                               // 00000000500C: D1CB00A8 06A20D08
	v_fma_f32 v169, v9, v6, v169                               // 000000005014: D1CB00A9 06A60D09
	v_fma_f32 v170, v10, v6, v170                              // 00000000501C: D1CB00AA 06AA0D0A
	v_fma_f32 v171, v11, v6, v171                              // 000000005024: D1CB00AB 06AE0D0B
	v_mul_f32_dpp v4, v27, v59 row_newbcast:0 row_mask:0xf bank_mask:0xf// 00000000502C: 0A0876FA FF01501B
	v_mfma_f32_16x16x32_fp8_fp8 v[8:11], a[160:161], a[104:105], 0// 000000005034: D3F30008 1A02D1A0
	v_mfma_f32_16x16x32_fp8_fp8 v[8:11], a[162:163], a[106:107], v[8:11]// 00000000503C: D3F30008 1C22D5A2
	v_mfma_f32_16x16x32_fp8_fp8 v[8:11], a[164:165], a[108:109], v[8:11]// 000000005044: D3F30008 1C22D9A4
	v_mfma_f32_16x16x32_fp8_fp8 v[8:11], a[166:167], a[110:111], v[8:11]// 00000000504C: D3F30008 1C22DDA6
	ds_read_b128 a[64:67], v2 offset:4096                      // 000000005054: DBFE1000 40000002
	ds_read_b128 a[68:71], v2 offset:4160                      // 00000000505C: DBFE1040 44000002
	v_fma_f32 v204, v12, v6, v204                              // 000000005064: D1CB00CC 07320D0C
	v_fma_f32 v205, v13, v6, v205                              // 00000000506C: D1CB00CD 07360D0D
	v_fma_f32 v206, v14, v6, v206                              // 000000005074: D1CB00CE 073A0D0E
	v_fma_f32 v207, v15, v6, v207                              // 00000000507C: D1CB00CF 073E0D0F
	v_mfma_f32_16x16x32_fp8_fp8 v[12:15], a[168:169], a[104:105], 0// 000000005084: D3F3000C 1A02D1A8
	v_mfma_f32_16x16x32_fp8_fp8 v[12:15], a[170:171], a[106:107], v[12:15]// 00000000508C: D3F3000C 1C32D5AA
	v_mfma_f32_16x16x32_fp8_fp8 v[12:15], a[172:173], a[108:109], v[12:15]// 000000005094: D3F3000C 1C32D9AC
	v_mfma_f32_16x16x32_fp8_fp8 v[12:15], a[174:175], a[110:111], v[12:15]// 00000000509C: D3F3000C 1C32DDAE
	v_fma_f32 v172, v8, v4, v172                               // 0000000050A4: D1CB00AC 06B20908
	v_fma_f32 v173, v9, v4, v173                               // 0000000050AC: D1CB00AD 06B60909
	v_fma_f32 v174, v10, v4, v174                              // 0000000050B4: D1CB00AE 06BA090A
	v_fma_f32 v175, v11, v4, v175                              // 0000000050BC: D1CB00AF 06BE090B
	v_mul_f32_dpp v6, v27, v60 row_newbcast:0 row_mask:0xf bank_mask:0xf// 0000000050C4: 0A0C78FA FF01501B
	v_mfma_f32_16x16x32_fp8_fp8 v[8:11], a[160:161], a[112:113], 0// 0000000050CC: D3F30008 1A02E1A0
	v_mfma_f32_16x16x32_fp8_fp8 v[8:11], a[162:163], a[114:115], v[8:11]// 0000000050D4: D3F30008 1C22E5A2
	v_mfma_f32_16x16x32_fp8_fp8 v[8:11], a[164:165], a[116:117], v[8:11]// 0000000050DC: D3F30008 1C22E9A4
	v_mfma_f32_16x16x32_fp8_fp8 v[8:11], a[166:167], a[118:119], v[8:11]// 0000000050E4: D3F30008 1C22EDA6
	v_fma_f32 v208, v12, v4, v208                              // 0000000050EC: D1CB00D0 0742090C
	v_fma_f32 v209, v13, v4, v209                              // 0000000050F4: D1CB00D1 0746090D
	v_fma_f32 v210, v14, v4, v210                              // 0000000050FC: D1CB00D2 074A090E
	v_fma_f32 v211, v15, v4, v211                              // 000000005104: D1CB00D3 074E090F
	v_mfma_f32_16x16x32_fp8_fp8 v[12:15], a[168:169], a[112:113], 0// 00000000510C: D3F3000C 1A02E1A8
	v_mfma_f32_16x16x32_fp8_fp8 v[12:15], a[170:171], a[114:115], v[12:15]// 000000005114: D3F3000C 1C32E5AA
	v_mfma_f32_16x16x32_fp8_fp8 v[12:15], a[172:173], a[116:117], v[12:15]// 00000000511C: D3F3000C 1C32E9AC
	v_mfma_f32_16x16x32_fp8_fp8 v[12:15], a[174:175], a[118:119], v[12:15]// 000000005124: D3F3000C 1C32EDAE
	v_fma_f32 v176, v8, v6, v176                               // 00000000512C: D1CB00B0 06C20D08
	v_fma_f32 v177, v9, v6, v177                               // 000000005134: D1CB00B1 06C60D09
	v_fma_f32 v178, v10, v6, v178                              // 00000000513C: D1CB00B2 06CA0D0A
	v_fma_f32 v179, v11, v6, v179                              // 000000005144: D1CB00B3 06CE0D0B
	v_mul_f32_dpp v4, v27, v61 row_newbcast:0 row_mask:0xf bank_mask:0xf// 00000000514C: 0A087AFA FF01501B
	v_mfma_f32_16x16x32_fp8_fp8 v[8:11], a[160:161], a[120:121], 0// 000000005154: D3F30008 1A02F1A0
	v_mfma_f32_16x16x32_fp8_fp8 v[8:11], a[162:163], a[122:123], v[8:11]// 00000000515C: D3F30008 1C22F5A2
	v_mfma_f32_16x16x32_fp8_fp8 v[8:11], a[164:165], a[124:125], v[8:11]// 000000005164: D3F30008 1C22F9A4
	v_mfma_f32_16x16x32_fp8_fp8 v[8:11], a[166:167], a[126:127], v[8:11]// 00000000516C: D3F30008 1C22FDA6
	v_fma_f32 v212, v12, v6, v212                              // 000000005174: D1CB00D4 07520D0C
	v_fma_f32 v213, v13, v6, v213                              // 00000000517C: D1CB00D5 07560D0D
	v_fma_f32 v214, v14, v6, v214                              // 000000005184: D1CB00D6 075A0D0E
	v_fma_f32 v215, v15, v6, v215                              // 00000000518C: D1CB00D7 075E0D0F
	v_mfma_f32_16x16x32_fp8_fp8 v[12:15], a[168:169], a[120:121], 0// 000000005194: D3F3000C 1A02F1A8
	v_mfma_f32_16x16x32_fp8_fp8 v[12:15], a[170:171], a[122:123], v[12:15]// 00000000519C: D3F3000C 1C32F5AA
	v_mfma_f32_16x16x32_fp8_fp8 v[12:15], a[172:173], a[124:125], v[12:15]// 0000000051A4: D3F3000C 1C32F9AC
	v_mfma_f32_16x16x32_fp8_fp8 v[12:15], a[174:175], a[126:127], v[12:15]// 0000000051AC: D3F3000C 1C32FDAE
	v_fma_f32 v180, v8, v4, v180                               // 0000000051B4: D1CB00B4 06D20908
	v_fma_f32 v181, v9, v4, v181                               // 0000000051BC: D1CB00B5 06D60909
	v_fma_f32 v182, v10, v4, v182                              // 0000000051C4: D1CB00B6 06DA090A
	v_fma_f32 v183, v11, v4, v183                              // 0000000051CC: D1CB00B7 06DE090B
	v_mul_f32_dpp v6, v27, v62 row_newbcast:0 row_mask:0xf bank_mask:0xf// 0000000051D4: 0A0C7CFA FF01501B
	v_mfma_f32_16x16x32_fp8_fp8 v[8:11], a[160:161], a[128:129], 0// 0000000051DC: D3F30008 1A0301A0
	v_mfma_f32_16x16x32_fp8_fp8 v[8:11], a[162:163], a[130:131], v[8:11]// 0000000051E4: D3F30008 1C2305A2
	v_mfma_f32_16x16x32_fp8_fp8 v[8:11], a[164:165], a[132:133], v[8:11]// 0000000051EC: D3F30008 1C2309A4
	v_mfma_f32_16x16x32_fp8_fp8 v[8:11], a[166:167], a[134:135], v[8:11]// 0000000051F4: D3F30008 1C230DA6
	v_fma_f32 v216, v12, v4, v216                              // 0000000051FC: D1CB00D8 0762090C
	v_fma_f32 v217, v13, v4, v217                              // 000000005204: D1CB00D9 0766090D
	v_fma_f32 v218, v14, v4, v218                              // 00000000520C: D1CB00DA 076A090E
	v_fma_f32 v219, v15, v4, v219                              // 000000005214: D1CB00DB 076E090F
	v_mfma_f32_16x16x32_fp8_fp8 v[12:15], a[168:169], a[128:129], 0// 00000000521C: D3F3000C 1A0301A8
	v_mfma_f32_16x16x32_fp8_fp8 v[12:15], a[170:171], a[130:131], v[12:15]// 000000005224: D3F3000C 1C3305AA
	v_mfma_f32_16x16x32_fp8_fp8 v[12:15], a[172:173], a[132:133], v[12:15]// 00000000522C: D3F3000C 1C3309AC
	v_mfma_f32_16x16x32_fp8_fp8 v[12:15], a[174:175], a[134:135], v[12:15]// 000000005234: D3F3000C 1C330DAE
	v_fma_f32 v184, v8, v6, v184                               // 00000000523C: D1CB00B8 06E20D08
	v_fma_f32 v185, v9, v6, v185                               // 000000005244: D1CB00B9 06E60D09
	v_fma_f32 v186, v10, v6, v186                              // 00000000524C: D1CB00BA 06EA0D0A
	v_fma_f32 v187, v11, v6, v187                              // 000000005254: D1CB00BB 06EE0D0B
	v_mul_f32_dpp v4, v27, v63 row_newbcast:0 row_mask:0xf bank_mask:0xf// 00000000525C: 0A087EFA FF01501B
	v_mfma_f32_16x16x32_fp8_fp8 v[8:11], a[160:161], a[136:137], 0// 000000005264: D3F30008 1A0311A0
	v_mfma_f32_16x16x32_fp8_fp8 v[8:11], a[162:163], a[138:139], v[8:11]// 00000000526C: D3F30008 1C2315A2
	v_mfma_f32_16x16x32_fp8_fp8 v[8:11], a[164:165], a[140:141], v[8:11]// 000000005274: D3F30008 1C2319A4
	s_add_u32 s60, 0x180, s80                                  // 00000000527C: 803C50FF 00000180
	s_cmp_lt_u32 s60, s81                                      // 000000005284: BF0A513C
	s_cselect_b32 s57, s57, 0                                  // 000000005288: 85398039
	s_cselect_b32 s3, s3, 0                                    // 00000000528C: 85038003
	v_mfma_f32_16x16x32_fp8_fp8 v[8:11], a[166:167], a[142:143], v[8:11]// 000000005290: D3F30008 1C231DA6
	s_add_u32 s60, 0x100, s80                                  // 000000005298: 803C50FF 00000100
	s_cmp_lt_u32 s60, s81                                      // 0000000052A0: BF0A513C
	s_cselect_b32 s58, s58, 0                                  // 0000000052A4: 853A803A
	v_fma_f32 v220, v12, v6, v220                              // 0000000052A8: D1CB00DC 07720D0C
	v_fma_f32 v221, v13, v6, v221                              // 0000000052B0: D1CB00DD 07760D0D
	v_fma_f32 v222, v14, v6, v222                              // 0000000052B8: D1CB00DE 077A0D0E
	v_fma_f32 v223, v15, v6, v223                              // 0000000052C0: D1CB00DF 077E0D0F
	v_mfma_f32_16x16x32_fp8_fp8 v[12:15], a[168:169], a[136:137], 0// 0000000052C8: D3F3000C 1A0311A8
	s_add_u32 s24, s58, s24                                    // 0000000052D0: 8018183A
	s_addc_u32 s25, 0, s25                                     // 0000000052D4: 82191980
	v_mfma_f32_16x16x32_fp8_fp8 v[12:15], a[170:171], a[138:139], v[12:15]// 0000000052D8: D3F3000C 1C3315AA
	s_add_u32 s20, s57, s20                                    // 0000000052E0: 80141439
	s_addc_u32 s21, 0, s21                                     // 0000000052E4: 82151580
	s_add_u32 s28, s3, s28                                     // 0000000052E8: 801C1C03
	s_addc_u32 s29, 0, s29                                     // 0000000052EC: 821D1D80
	v_mfma_f32_16x16x32_fp8_fp8 v[12:15], a[172:173], a[140:141], v[12:15]// 0000000052F0: D3F3000C 1C3319AC
	s_add_u32 s84, s83, s84                                    // 0000000052F8: 80545453
	s_addc_u32 s85, 0, s85                                     // 0000000052FC: 82555580
	v_mfma_f32_16x16x32_fp8_fp8 v[12:15], a[174:175], a[142:143], v[12:15]// 000000005300: D3F3000C 1C331DAE
	v_fma_f32 v188, v8, v4, v188                               // 000000005308: D1CB00BC 06F20908
	v_fma_f32 v189, v9, v4, v189                               // 000000005310: D1CB00BD 06F60909
	v_fma_f32 v190, v10, v4, v190                              // 000000005318: D1CB00BE 06FA090A
	v_fma_f32 v191, v11, v4, v191                              // 000000005320: D1CB00BF 06FE090B
	v_fma_f32 v224, v12, v4, v224                              // 000000005328: D1CB00E0 0782090C
	v_fma_f32 v225, v13, v4, v225                              // 000000005330: D1CB00E1 0786090D
	v_fma_f32 v226, v14, v4, v226                              // 000000005338: D1CB00E2 078A090E
	v_fma_f32 v227, v15, v4, v227                              // 000000005340: D1CB00E3 078E090F
	s_addk_i32 s80, 0x80                                       // 000000005348: B7500080
	s_cmp_lt_i32 s80, s81                                      // 00000000534C: BF045150
	s_cbranch_scc0 label_0A56                                  // 000000005350: BF840001
	s_branch label_03F7                                        // 000000005354: BF82F9A1

0000000000005358 <label_0A56>:
	s_cmp_eq_u32 s88, 0                                        // 000000005358: BF068058
	s_cbranch_scc0 label_1658                                  // 00000000535C: BF840C00
	s_cmp_eq_u32 s89, 0                                        // 000000005360: BF068059
	s_cbranch_scc1 label_0D2F                                  // 000000005364: BF8502D5
	v_mov_b32_e32 v8, v1                                       // 000000005368: 7E100301
	v_mov_b32_e32 v9, v1                                       // 00000000536C: 7E120301
	s_mov_b32 s60, s6                                          // 000000005370: BEBC0006
	s_mov_b32 s61, s6                                          // 000000005374: BEBD0006
	v_pk_mul_f32 v[4:5], v[84:85], v[84:85]                    // 000000005378: D3B14004 1802A954
	v_pk_mul_f32 v[6:7], v[86:87], v[86:87]                    // 000000005380: D3B14006 1802AD56
	v_pk_fma_f32 v[4:5], v[4:5], s[78:79], v[8:9]              // 000000005388: D3B04004 1C209D04
	v_pk_fma_f32 v[6:7], v[6:7], s[78:79], v[8:9]              // 000000005390: D3B04006 1C209D06
	v_pk_mul_f32 v[4:5], v[4:5], v[84:85]                      // 000000005398: D3B14004 1802A904
	v_pk_mul_f32 v[6:7], v[6:7], v[86:87]                      // 0000000053A0: D3B14006 1802AD06
	v_pk_mul_f32 v[4:5], v[4:5], s[60:61]                      // 0000000053A8: D3B14004 18007904
	v_pk_mul_f32 v[6:7], v[6:7], s[60:61]                      // 0000000053B0: D3B14006 18007906
	v_exp_f32_e32 v4, v4                                       // 0000000053B8: 7E084104
	v_exp_f32_e32 v5, v5                                       // 0000000053BC: 7E0A4105
	v_exp_f32_e32 v6, v6                                       // 0000000053C0: 7E0C4106
	v_exp_f32_e32 v7, v7                                       // 0000000053C4: 7E0E4107
	v_add_f32_e64 v4, v4, 1.0                                  // 0000000053C8: D1010004 0001E504
	v_add_f32_e64 v5, v5, 1.0                                  // 0000000053D0: D1010005 0001E505
	v_add_f32_e64 v6, v6, 1.0                                  // 0000000053D8: D1010006 0001E506
	v_add_f32_e64 v7, v7, 1.0                                  // 0000000053E0: D1010007 0001E507
	v_rcp_f32_e32 v4, v4                                       // 0000000053E8: 7E084504
	v_rcp_f32_e32 v5, v5                                       // 0000000053EC: 7E0A4505
	v_rcp_f32_e32 v6, v6                                       // 0000000053F0: 7E0C4506
	v_rcp_f32_e32 v7, v7                                       // 0000000053F4: 7E0E4507
	v_mul_f32_e32 v84, v84, v4                                 // 0000000053F8: 0AA80954
	v_mul_f32_e32 v85, v85, v5                                 // 0000000053FC: 0AAA0B55
	v_mul_f32_e32 v86, v86, v6                                 // 000000005400: 0AAC0D56
	v_mul_f32_e32 v87, v87, v7                                 // 000000005404: 0AAE0F57
	v_mul_f32_e32 v84, v84, v156                               // 000000005408: 0AA93954
	v_mul_f32_e32 v85, v85, v157                               // 00000000540C: 0AAB3B55
	v_mul_f32_e32 v86, v86, v158                               // 000000005410: 0AAD3D56
	v_mul_f32_e32 v87, v87, v159                               // 000000005414: 0AAF3F57
	v_pk_mul_f32 v[4:5], v[88:89], v[88:89]                    // 000000005418: D3B14004 1802B158
	v_pk_mul_f32 v[6:7], v[90:91], v[90:91]                    // 000000005420: D3B14006 1802B55A
	v_pk_fma_f32 v[4:5], v[4:5], s[78:79], v[8:9]              // 000000005428: D3B04004 1C209D04
	v_pk_fma_f32 v[6:7], v[6:7], s[78:79], v[8:9]              // 000000005430: D3B04006 1C209D06
	v_pk_mul_f32 v[4:5], v[4:5], v[88:89]                      // 000000005438: D3B14004 1802B104
	v_pk_mul_f32 v[6:7], v[6:7], v[90:91]                      // 000000005440: D3B14006 1802B506
	v_pk_mul_f32 v[4:5], v[4:5], s[60:61]                      // 000000005448: D3B14004 18007904
	v_pk_mul_f32 v[6:7], v[6:7], s[60:61]                      // 000000005450: D3B14006 18007906
	v_exp_f32_e32 v4, v4                                       // 000000005458: 7E084104
	v_exp_f32_e32 v5, v5                                       // 00000000545C: 7E0A4105
	v_exp_f32_e32 v6, v6                                       // 000000005460: 7E0C4106
	v_exp_f32_e32 v7, v7                                       // 000000005464: 7E0E4107
	v_add_f32_e64 v4, v4, 1.0                                  // 000000005468: D1010004 0001E504
	v_add_f32_e64 v5, v5, 1.0                                  // 000000005470: D1010005 0001E505
	v_add_f32_e64 v6, v6, 1.0                                  // 000000005478: D1010006 0001E506
	v_add_f32_e64 v7, v7, 1.0                                  // 000000005480: D1010007 0001E507
	v_rcp_f32_e32 v4, v4                                       // 000000005488: 7E084504
	v_rcp_f32_e32 v5, v5                                       // 00000000548C: 7E0A4505
	v_rcp_f32_e32 v6, v6                                       // 000000005490: 7E0C4506
	v_rcp_f32_e32 v7, v7                                       // 000000005494: 7E0E4507
	v_mul_f32_e32 v88, v88, v4                                 // 000000005498: 0AB00958
	v_mul_f32_e32 v89, v89, v5                                 // 00000000549C: 0AB20B59
	v_mul_f32_e32 v90, v90, v6                                 // 0000000054A0: 0AB40D5A
	v_mul_f32_e32 v91, v91, v7                                 // 0000000054A4: 0AB60F5B
	v_mul_f32_e32 v88, v88, v160                               // 0000000054A8: 0AB14158
	v_mul_f32_e32 v89, v89, v161                               // 0000000054AC: 0AB34359
	v_mul_f32_e32 v90, v90, v162                               // 0000000054B0: 0AB5455A
	v_mul_f32_e32 v91, v91, v163                               // 0000000054B4: 0AB7475B
	v_pk_mul_f32 v[4:5], v[92:93], v[92:93]                    // 0000000054B8: D3B14004 1802B95C
	v_pk_mul_f32 v[6:7], v[94:95], v[94:95]                    // 0000000054C0: D3B14006 1802BD5E
	v_pk_fma_f32 v[4:5], v[4:5], s[78:79], v[8:9]              // 0000000054C8: D3B04004 1C209D04
	v_pk_fma_f32 v[6:7], v[6:7], s[78:79], v[8:9]              // 0000000054D0: D3B04006 1C209D06
	v_pk_mul_f32 v[4:5], v[4:5], v[92:93]                      // 0000000054D8: D3B14004 1802B904
	v_pk_mul_f32 v[6:7], v[6:7], v[94:95]                      // 0000000054E0: D3B14006 1802BD06
	v_pk_mul_f32 v[4:5], v[4:5], s[60:61]                      // 0000000054E8: D3B14004 18007904
	v_pk_mul_f32 v[6:7], v[6:7], s[60:61]                      // 0000000054F0: D3B14006 18007906
	v_exp_f32_e32 v4, v4                                       // 0000000054F8: 7E084104
	v_exp_f32_e32 v5, v5                                       // 0000000054FC: 7E0A4105
	v_exp_f32_e32 v6, v6                                       // 000000005500: 7E0C4106
	v_exp_f32_e32 v7, v7                                       // 000000005504: 7E0E4107
	v_add_f32_e64 v4, v4, 1.0                                  // 000000005508: D1010004 0001E504
	v_add_f32_e64 v5, v5, 1.0                                  // 000000005510: D1010005 0001E505
	v_add_f32_e64 v6, v6, 1.0                                  // 000000005518: D1010006 0001E506
	v_add_f32_e64 v7, v7, 1.0                                  // 000000005520: D1010007 0001E507
	v_rcp_f32_e32 v4, v4                                       // 000000005528: 7E084504
	v_rcp_f32_e32 v5, v5                                       // 00000000552C: 7E0A4505
	v_rcp_f32_e32 v6, v6                                       // 000000005530: 7E0C4506
	v_rcp_f32_e32 v7, v7                                       // 000000005534: 7E0E4507
	v_mul_f32_e32 v92, v92, v4                                 // 000000005538: 0AB8095C
	v_mul_f32_e32 v93, v93, v5                                 // 00000000553C: 0ABA0B5D
	v_mul_f32_e32 v94, v94, v6                                 // 000000005540: 0ABC0D5E
	v_mul_f32_e32 v95, v95, v7                                 // 000000005544: 0ABE0F5F
	v_mul_f32_e32 v92, v92, v164                               // 000000005548: 0AB9495C
	v_mul_f32_e32 v93, v93, v165                               // 00000000554C: 0ABB4B5D
	v_mul_f32_e32 v94, v94, v166                               // 000000005550: 0ABD4D5E
	v_mul_f32_e32 v95, v95, v167                               // 000000005554: 0ABF4F5F
	v_pk_mul_f32 v[4:5], v[96:97], v[96:97]                    // 000000005558: D3B14004 1802C160
	v_pk_mul_f32 v[6:7], v[98:99], v[98:99]                    // 000000005560: D3B14006 1802C562
	v_pk_fma_f32 v[4:5], v[4:5], s[78:79], v[8:9]              // 000000005568: D3B04004 1C209D04
	v_pk_fma_f32 v[6:7], v[6:7], s[78:79], v[8:9]              // 000000005570: D3B04006 1C209D06
	v_pk_mul_f32 v[4:5], v[4:5], v[96:97]                      // 000000005578: D3B14004 1802C104
	v_pk_mul_f32 v[6:7], v[6:7], v[98:99]                      // 000000005580: D3B14006 1802C506
	v_pk_mul_f32 v[4:5], v[4:5], s[60:61]                      // 000000005588: D3B14004 18007904
	v_pk_mul_f32 v[6:7], v[6:7], s[60:61]                      // 000000005590: D3B14006 18007906
	v_exp_f32_e32 v4, v4                                       // 000000005598: 7E084104
	v_exp_f32_e32 v5, v5                                       // 00000000559C: 7E0A4105
	v_exp_f32_e32 v6, v6                                       // 0000000055A0: 7E0C4106
	v_exp_f32_e32 v7, v7                                       // 0000000055A4: 7E0E4107
	v_add_f32_e64 v4, v4, 1.0                                  // 0000000055A8: D1010004 0001E504
	v_add_f32_e64 v5, v5, 1.0                                  // 0000000055B0: D1010005 0001E505
	v_add_f32_e64 v6, v6, 1.0                                  // 0000000055B8: D1010006 0001E506
	v_add_f32_e64 v7, v7, 1.0                                  // 0000000055C0: D1010007 0001E507
	v_rcp_f32_e32 v4, v4                                       // 0000000055C8: 7E084504
	v_rcp_f32_e32 v5, v5                                       // 0000000055CC: 7E0A4505
	v_rcp_f32_e32 v6, v6                                       // 0000000055D0: 7E0C4506
	v_rcp_f32_e32 v7, v7                                       // 0000000055D4: 7E0E4507
	v_mul_f32_e32 v96, v96, v4                                 // 0000000055D8: 0AC00960
	v_mul_f32_e32 v97, v97, v5                                 // 0000000055DC: 0AC20B61
	v_mul_f32_e32 v98, v98, v6                                 // 0000000055E0: 0AC40D62
	v_mul_f32_e32 v99, v99, v7                                 // 0000000055E4: 0AC60F63
	v_mul_f32_e32 v96, v96, v168                               // 0000000055E8: 0AC15160
	v_mul_f32_e32 v97, v97, v169                               // 0000000055EC: 0AC35361
	v_mul_f32_e32 v98, v98, v170                               // 0000000055F0: 0AC55562
	v_mul_f32_e32 v99, v99, v171                               // 0000000055F4: 0AC75763
	v_pk_mul_f32 v[4:5], v[100:101], v[100:101]                // 0000000055F8: D3B14004 1802C964
	v_pk_mul_f32 v[6:7], v[102:103], v[102:103]                // 000000005600: D3B14006 1802CD66
	v_pk_fma_f32 v[4:5], v[4:5], s[78:79], v[8:9]              // 000000005608: D3B04004 1C209D04
	v_pk_fma_f32 v[6:7], v[6:7], s[78:79], v[8:9]              // 000000005610: D3B04006 1C209D06
	v_pk_mul_f32 v[4:5], v[4:5], v[100:101]                    // 000000005618: D3B14004 1802C904
	v_pk_mul_f32 v[6:7], v[6:7], v[102:103]                    // 000000005620: D3B14006 1802CD06
	v_pk_mul_f32 v[4:5], v[4:5], s[60:61]                      // 000000005628: D3B14004 18007904
	v_pk_mul_f32 v[6:7], v[6:7], s[60:61]                      // 000000005630: D3B14006 18007906
	v_exp_f32_e32 v4, v4                                       // 000000005638: 7E084104
	v_exp_f32_e32 v5, v5                                       // 00000000563C: 7E0A4105
	v_exp_f32_e32 v6, v6                                       // 000000005640: 7E0C4106
	v_exp_f32_e32 v7, v7                                       // 000000005644: 7E0E4107
	v_add_f32_e64 v4, v4, 1.0                                  // 000000005648: D1010004 0001E504
	v_add_f32_e64 v5, v5, 1.0                                  // 000000005650: D1010005 0001E505
	v_add_f32_e64 v6, v6, 1.0                                  // 000000005658: D1010006 0001E506
	v_add_f32_e64 v7, v7, 1.0                                  // 000000005660: D1010007 0001E507
	v_rcp_f32_e32 v4, v4                                       // 000000005668: 7E084504
	v_rcp_f32_e32 v5, v5                                       // 00000000566C: 7E0A4505
	v_rcp_f32_e32 v6, v6                                       // 000000005670: 7E0C4506
	v_rcp_f32_e32 v7, v7                                       // 000000005674: 7E0E4507
	v_mul_f32_e32 v100, v100, v4                               // 000000005678: 0AC80964
	v_mul_f32_e32 v101, v101, v5                               // 00000000567C: 0ACA0B65
	v_mul_f32_e32 v102, v102, v6                               // 000000005680: 0ACC0D66
	v_mul_f32_e32 v103, v103, v7                               // 000000005684: 0ACE0F67
	v_mul_f32_e32 v100, v100, v172                             // 000000005688: 0AC95964
	v_mul_f32_e32 v101, v101, v173                             // 00000000568C: 0ACB5B65
	v_mul_f32_e32 v102, v102, v174                             // 000000005690: 0ACD5D66
	v_mul_f32_e32 v103, v103, v175                             // 000000005694: 0ACF5F67
	v_pk_mul_f32 v[4:5], v[104:105], v[104:105]                // 000000005698: D3B14004 1802D168
	v_pk_mul_f32 v[6:7], v[106:107], v[106:107]                // 0000000056A0: D3B14006 1802D56A
	v_pk_fma_f32 v[4:5], v[4:5], s[78:79], v[8:9]              // 0000000056A8: D3B04004 1C209D04
	v_pk_fma_f32 v[6:7], v[6:7], s[78:79], v[8:9]              // 0000000056B0: D3B04006 1C209D06
	v_pk_mul_f32 v[4:5], v[4:5], v[104:105]                    // 0000000056B8: D3B14004 1802D104
	v_pk_mul_f32 v[6:7], v[6:7], v[106:107]                    // 0000000056C0: D3B14006 1802D506
	v_pk_mul_f32 v[4:5], v[4:5], s[60:61]                      // 0000000056C8: D3B14004 18007904
	v_pk_mul_f32 v[6:7], v[6:7], s[60:61]                      // 0000000056D0: D3B14006 18007906
	v_exp_f32_e32 v4, v4                                       // 0000000056D8: 7E084104
	v_exp_f32_e32 v5, v5                                       // 0000000056DC: 7E0A4105
	v_exp_f32_e32 v6, v6                                       // 0000000056E0: 7E0C4106
	v_exp_f32_e32 v7, v7                                       // 0000000056E4: 7E0E4107
	v_add_f32_e64 v4, v4, 1.0                                  // 0000000056E8: D1010004 0001E504
	v_add_f32_e64 v5, v5, 1.0                                  // 0000000056F0: D1010005 0001E505
	v_add_f32_e64 v6, v6, 1.0                                  // 0000000056F8: D1010006 0001E506
	v_add_f32_e64 v7, v7, 1.0                                  // 000000005700: D1010007 0001E507
	v_rcp_f32_e32 v4, v4                                       // 000000005708: 7E084504
	v_rcp_f32_e32 v5, v5                                       // 00000000570C: 7E0A4505
	v_rcp_f32_e32 v6, v6                                       // 000000005710: 7E0C4506
	v_rcp_f32_e32 v7, v7                                       // 000000005714: 7E0E4507
	v_mul_f32_e32 v104, v104, v4                               // 000000005718: 0AD00968
	v_mul_f32_e32 v105, v105, v5                               // 00000000571C: 0AD20B69
	v_mul_f32_e32 v106, v106, v6                               // 000000005720: 0AD40D6A
	v_mul_f32_e32 v107, v107, v7                               // 000000005724: 0AD60F6B
	v_mul_f32_e32 v104, v104, v176                             // 000000005728: 0AD16168
	v_mul_f32_e32 v105, v105, v177                             // 00000000572C: 0AD36369
	v_mul_f32_e32 v106, v106, v178                             // 000000005730: 0AD5656A
	v_mul_f32_e32 v107, v107, v179                             // 000000005734: 0AD7676B
	v_pk_mul_f32 v[4:5], v[108:109], v[108:109]                // 000000005738: D3B14004 1802D96C
	v_pk_mul_f32 v[6:7], v[110:111], v[110:111]                // 000000005740: D3B14006 1802DD6E
	v_pk_fma_f32 v[4:5], v[4:5], s[78:79], v[8:9]              // 000000005748: D3B04004 1C209D04
	v_pk_fma_f32 v[6:7], v[6:7], s[78:79], v[8:9]              // 000000005750: D3B04006 1C209D06
	v_pk_mul_f32 v[4:5], v[4:5], v[108:109]                    // 000000005758: D3B14004 1802D904
	v_pk_mul_f32 v[6:7], v[6:7], v[110:111]                    // 000000005760: D3B14006 1802DD06
	v_pk_mul_f32 v[4:5], v[4:5], s[60:61]                      // 000000005768: D3B14004 18007904
	v_pk_mul_f32 v[6:7], v[6:7], s[60:61]                      // 000000005770: D3B14006 18007906
	v_exp_f32_e32 v4, v4                                       // 000000005778: 7E084104
	v_exp_f32_e32 v5, v5                                       // 00000000577C: 7E0A4105
	v_exp_f32_e32 v6, v6                                       // 000000005780: 7E0C4106
	v_exp_f32_e32 v7, v7                                       // 000000005784: 7E0E4107
	v_add_f32_e64 v4, v4, 1.0                                  // 000000005788: D1010004 0001E504
	v_add_f32_e64 v5, v5, 1.0                                  // 000000005790: D1010005 0001E505
	v_add_f32_e64 v6, v6, 1.0                                  // 000000005798: D1010006 0001E506
	v_add_f32_e64 v7, v7, 1.0                                  // 0000000057A0: D1010007 0001E507
	v_rcp_f32_e32 v4, v4                                       // 0000000057A8: 7E084504
	v_rcp_f32_e32 v5, v5                                       // 0000000057AC: 7E0A4505
	v_rcp_f32_e32 v6, v6                                       // 0000000057B0: 7E0C4506
	v_rcp_f32_e32 v7, v7                                       // 0000000057B4: 7E0E4507
	v_mul_f32_e32 v108, v108, v4                               // 0000000057B8: 0AD8096C
	v_mul_f32_e32 v109, v109, v5                               // 0000000057BC: 0ADA0B6D
	v_mul_f32_e32 v110, v110, v6                               // 0000000057C0: 0ADC0D6E
	v_mul_f32_e32 v111, v111, v7                               // 0000000057C4: 0ADE0F6F
	v_mul_f32_e32 v108, v108, v180                             // 0000000057C8: 0AD9696C
	v_mul_f32_e32 v109, v109, v181                             // 0000000057CC: 0ADB6B6D
	v_mul_f32_e32 v110, v110, v182                             // 0000000057D0: 0ADD6D6E
	v_mul_f32_e32 v111, v111, v183                             // 0000000057D4: 0ADF6F6F
	v_pk_mul_f32 v[4:5], v[112:113], v[112:113]                // 0000000057D8: D3B14004 1802E170
	v_pk_mul_f32 v[6:7], v[114:115], v[114:115]                // 0000000057E0: D3B14006 1802E572
	v_pk_fma_f32 v[4:5], v[4:5], s[78:79], v[8:9]              // 0000000057E8: D3B04004 1C209D04
	v_pk_fma_f32 v[6:7], v[6:7], s[78:79], v[8:9]              // 0000000057F0: D3B04006 1C209D06
	v_pk_mul_f32 v[4:5], v[4:5], v[112:113]                    // 0000000057F8: D3B14004 1802E104
	v_pk_mul_f32 v[6:7], v[6:7], v[114:115]                    // 000000005800: D3B14006 1802E506
	v_pk_mul_f32 v[4:5], v[4:5], s[60:61]                      // 000000005808: D3B14004 18007904
	v_pk_mul_f32 v[6:7], v[6:7], s[60:61]                      // 000000005810: D3B14006 18007906
	v_exp_f32_e32 v4, v4                                       // 000000005818: 7E084104
	v_exp_f32_e32 v5, v5                                       // 00000000581C: 7E0A4105
	v_exp_f32_e32 v6, v6                                       // 000000005820: 7E0C4106
	v_exp_f32_e32 v7, v7                                       // 000000005824: 7E0E4107
	v_add_f32_e64 v4, v4, 1.0                                  // 000000005828: D1010004 0001E504
	v_add_f32_e64 v5, v5, 1.0                                  // 000000005830: D1010005 0001E505
	v_add_f32_e64 v6, v6, 1.0                                  // 000000005838: D1010006 0001E506
	v_add_f32_e64 v7, v7, 1.0                                  // 000000005840: D1010007 0001E507
	v_rcp_f32_e32 v4, v4                                       // 000000005848: 7E084504
	v_rcp_f32_e32 v5, v5                                       // 00000000584C: 7E0A4505
	v_rcp_f32_e32 v6, v6                                       // 000000005850: 7E0C4506
	v_rcp_f32_e32 v7, v7                                       // 000000005854: 7E0E4507
	v_mul_f32_e32 v112, v112, v4                               // 000000005858: 0AE00970
	v_mul_f32_e32 v113, v113, v5                               // 00000000585C: 0AE20B71
	v_mul_f32_e32 v114, v114, v6                               // 000000005860: 0AE40D72
	v_mul_f32_e32 v115, v115, v7                               // 000000005864: 0AE60F73
	v_mul_f32_e32 v112, v112, v184                             // 000000005868: 0AE17170
	v_mul_f32_e32 v113, v113, v185                             // 00000000586C: 0AE37371
	v_mul_f32_e32 v114, v114, v186                             // 000000005870: 0AE57572
	v_mul_f32_e32 v115, v115, v187                             // 000000005874: 0AE77773
	v_pk_mul_f32 v[4:5], v[116:117], v[116:117]                // 000000005878: D3B14004 1802E974
	v_pk_mul_f32 v[6:7], v[118:119], v[118:119]                // 000000005880: D3B14006 1802ED76
	v_pk_fma_f32 v[4:5], v[4:5], s[78:79], v[8:9]              // 000000005888: D3B04004 1C209D04
	v_pk_fma_f32 v[6:7], v[6:7], s[78:79], v[8:9]              // 000000005890: D3B04006 1C209D06
	v_pk_mul_f32 v[4:5], v[4:5], v[116:117]                    // 000000005898: D3B14004 1802E904
	v_pk_mul_f32 v[6:7], v[6:7], v[118:119]                    // 0000000058A0: D3B14006 1802ED06
	v_pk_mul_f32 v[4:5], v[4:5], s[60:61]                      // 0000000058A8: D3B14004 18007904
	v_pk_mul_f32 v[6:7], v[6:7], s[60:61]                      // 0000000058B0: D3B14006 18007906
	v_exp_f32_e32 v4, v4                                       // 0000000058B8: 7E084104
	v_exp_f32_e32 v5, v5                                       // 0000000058BC: 7E0A4105
	v_exp_f32_e32 v6, v6                                       // 0000000058C0: 7E0C4106
	v_exp_f32_e32 v7, v7                                       // 0000000058C4: 7E0E4107
	v_add_f32_e64 v4, v4, 1.0                                  // 0000000058C8: D1010004 0001E504
	v_add_f32_e64 v5, v5, 1.0                                  // 0000000058D0: D1010005 0001E505
	v_add_f32_e64 v6, v6, 1.0                                  // 0000000058D8: D1010006 0001E506
	v_add_f32_e64 v7, v7, 1.0                                  // 0000000058E0: D1010007 0001E507
	v_rcp_f32_e32 v4, v4                                       // 0000000058E8: 7E084504
	v_rcp_f32_e32 v5, v5                                       // 0000000058EC: 7E0A4505
	v_rcp_f32_e32 v6, v6                                       // 0000000058F0: 7E0C4506
	v_rcp_f32_e32 v7, v7                                       // 0000000058F4: 7E0E4507
	v_mul_f32_e32 v116, v116, v4                               // 0000000058F8: 0AE80974
	v_mul_f32_e32 v117, v117, v5                               // 0000000058FC: 0AEA0B75
	v_mul_f32_e32 v118, v118, v6                               // 000000005900: 0AEC0D76
	v_mul_f32_e32 v119, v119, v7                               // 000000005904: 0AEE0F77
	v_mul_f32_e32 v116, v116, v188                             // 000000005908: 0AE97974
	v_mul_f32_e32 v117, v117, v189                             // 00000000590C: 0AEB7B75
	v_mul_f32_e32 v118, v118, v190                             // 000000005910: 0AED7D76
	v_mul_f32_e32 v119, v119, v191                             // 000000005914: 0AEF7F77
	v_pk_mul_f32 v[4:5], v[120:121], v[120:121]                // 000000005918: D3B14004 1802F178
	v_pk_mul_f32 v[6:7], v[122:123], v[122:123]                // 000000005920: D3B14006 1802F57A
	v_pk_fma_f32 v[4:5], v[4:5], s[78:79], v[8:9]              // 000000005928: D3B04004 1C209D04
	v_pk_fma_f32 v[6:7], v[6:7], s[78:79], v[8:9]              // 000000005930: D3B04006 1C209D06
	v_pk_mul_f32 v[4:5], v[4:5], v[120:121]                    // 000000005938: D3B14004 1802F104
	v_pk_mul_f32 v[6:7], v[6:7], v[122:123]                    // 000000005940: D3B14006 1802F506
	v_pk_mul_f32 v[4:5], v[4:5], s[60:61]                      // 000000005948: D3B14004 18007904
	v_pk_mul_f32 v[6:7], v[6:7], s[60:61]                      // 000000005950: D3B14006 18007906
	v_exp_f32_e32 v4, v4                                       // 000000005958: 7E084104
	v_exp_f32_e32 v5, v5                                       // 00000000595C: 7E0A4105
	v_exp_f32_e32 v6, v6                                       // 000000005960: 7E0C4106
	v_exp_f32_e32 v7, v7                                       // 000000005964: 7E0E4107
	v_add_f32_e64 v4, v4, 1.0                                  // 000000005968: D1010004 0001E504
	v_add_f32_e64 v5, v5, 1.0                                  // 000000005970: D1010005 0001E505
	v_add_f32_e64 v6, v6, 1.0                                  // 000000005978: D1010006 0001E506
	v_add_f32_e64 v7, v7, 1.0                                  // 000000005980: D1010007 0001E507
	v_rcp_f32_e32 v4, v4                                       // 000000005988: 7E084504
	v_rcp_f32_e32 v5, v5                                       // 00000000598C: 7E0A4505
	v_rcp_f32_e32 v6, v6                                       // 000000005990: 7E0C4506
	v_rcp_f32_e32 v7, v7                                       // 000000005994: 7E0E4507
	v_mul_f32_e32 v120, v120, v4                               // 000000005998: 0AF00978
	v_mul_f32_e32 v121, v121, v5                               // 00000000599C: 0AF20B79
	v_mul_f32_e32 v122, v122, v6                               // 0000000059A0: 0AF40D7A
	v_mul_f32_e32 v123, v123, v7                               // 0000000059A4: 0AF60F7B
	v_mul_f32_e32 v120, v120, v192                             // 0000000059A8: 0AF18178
	v_mul_f32_e32 v121, v121, v193                             // 0000000059AC: 0AF38379
	v_mul_f32_e32 v122, v122, v194                             // 0000000059B0: 0AF5857A
	v_mul_f32_e32 v123, v123, v195                             // 0000000059B4: 0AF7877B
	v_pk_mul_f32 v[4:5], v[124:125], v[124:125]                // 0000000059B8: D3B14004 1802F97C
	v_pk_mul_f32 v[6:7], v[126:127], v[126:127]                // 0000000059C0: D3B14006 1802FD7E
	v_pk_fma_f32 v[4:5], v[4:5], s[78:79], v[8:9]              // 0000000059C8: D3B04004 1C209D04
	v_pk_fma_f32 v[6:7], v[6:7], s[78:79], v[8:9]              // 0000000059D0: D3B04006 1C209D06
	v_pk_mul_f32 v[4:5], v[4:5], v[124:125]                    // 0000000059D8: D3B14004 1802F904
	v_pk_mul_f32 v[6:7], v[6:7], v[126:127]                    // 0000000059E0: D3B14006 1802FD06
	v_pk_mul_f32 v[4:5], v[4:5], s[60:61]                      // 0000000059E8: D3B14004 18007904
	v_pk_mul_f32 v[6:7], v[6:7], s[60:61]                      // 0000000059F0: D3B14006 18007906
	v_exp_f32_e32 v4, v4                                       // 0000000059F8: 7E084104
	v_exp_f32_e32 v5, v5                                       // 0000000059FC: 7E0A4105
	v_exp_f32_e32 v6, v6                                       // 000000005A00: 7E0C4106
	v_exp_f32_e32 v7, v7                                       // 000000005A04: 7E0E4107
	v_add_f32_e64 v4, v4, 1.0                                  // 000000005A08: D1010004 0001E504
	v_add_f32_e64 v5, v5, 1.0                                  // 000000005A10: D1010005 0001E505
	v_add_f32_e64 v6, v6, 1.0                                  // 000000005A18: D1010006 0001E506
	v_add_f32_e64 v7, v7, 1.0                                  // 000000005A20: D1010007 0001E507
	v_rcp_f32_e32 v4, v4                                       // 000000005A28: 7E084504
	v_rcp_f32_e32 v5, v5                                       // 000000005A2C: 7E0A4505
	v_rcp_f32_e32 v6, v6                                       // 000000005A30: 7E0C4506
	v_rcp_f32_e32 v7, v7                                       // 000000005A34: 7E0E4507
	v_mul_f32_e32 v124, v124, v4                               // 000000005A38: 0AF8097C
	v_mul_f32_e32 v125, v125, v5                               // 000000005A3C: 0AFA0B7D
	v_mul_f32_e32 v126, v126, v6                               // 000000005A40: 0AFC0D7E
	v_mul_f32_e32 v127, v127, v7                               // 000000005A44: 0AFE0F7F
	v_mul_f32_e32 v124, v124, v196                             // 000000005A48: 0AF9897C
	v_mul_f32_e32 v125, v125, v197                             // 000000005A4C: 0AFB8B7D
	v_mul_f32_e32 v126, v126, v198                             // 000000005A50: 0AFD8D7E
	v_mul_f32_e32 v127, v127, v199                             // 000000005A54: 0AFF8F7F
	v_pk_mul_f32 v[4:5], v[128:129], v[128:129]                // 000000005A58: D3B14004 18030180
	v_pk_mul_f32 v[6:7], v[130:131], v[130:131]                // 000000005A60: D3B14006 18030582
	v_pk_fma_f32 v[4:5], v[4:5], s[78:79], v[8:9]              // 000000005A68: D3B04004 1C209D04
	v_pk_fma_f32 v[6:7], v[6:7], s[78:79], v[8:9]              // 000000005A70: D3B04006 1C209D06
	v_pk_mul_f32 v[4:5], v[4:5], v[128:129]                    // 000000005A78: D3B14004 18030104
	v_pk_mul_f32 v[6:7], v[6:7], v[130:131]                    // 000000005A80: D3B14006 18030506
	v_pk_mul_f32 v[4:5], v[4:5], s[60:61]                      // 000000005A88: D3B14004 18007904
	v_pk_mul_f32 v[6:7], v[6:7], s[60:61]                      // 000000005A90: D3B14006 18007906
	v_exp_f32_e32 v4, v4                                       // 000000005A98: 7E084104
	v_exp_f32_e32 v5, v5                                       // 000000005A9C: 7E0A4105
	v_exp_f32_e32 v6, v6                                       // 000000005AA0: 7E0C4106
	v_exp_f32_e32 v7, v7                                       // 000000005AA4: 7E0E4107
	v_add_f32_e64 v4, v4, 1.0                                  // 000000005AA8: D1010004 0001E504
	v_add_f32_e64 v5, v5, 1.0                                  // 000000005AB0: D1010005 0001E505
	v_add_f32_e64 v6, v6, 1.0                                  // 000000005AB8: D1010006 0001E506
	v_add_f32_e64 v7, v7, 1.0                                  // 000000005AC0: D1010007 0001E507
	v_rcp_f32_e32 v4, v4                                       // 000000005AC8: 7E084504
	v_rcp_f32_e32 v5, v5                                       // 000000005ACC: 7E0A4505
	v_rcp_f32_e32 v6, v6                                       // 000000005AD0: 7E0C4506
	v_rcp_f32_e32 v7, v7                                       // 000000005AD4: 7E0E4507
	v_mul_f32_e32 v128, v128, v4                               // 000000005AD8: 0B000980
	v_mul_f32_e32 v129, v129, v5                               // 000000005ADC: 0B020B81
	v_mul_f32_e32 v130, v130, v6                               // 000000005AE0: 0B040D82
	v_mul_f32_e32 v131, v131, v7                               // 000000005AE4: 0B060F83
	v_mul_f32_e32 v128, v128, v200                             // 000000005AE8: 0B019180
	v_mul_f32_e32 v129, v129, v201                             // 000000005AEC: 0B039381
	v_mul_f32_e32 v130, v130, v202                             // 000000005AF0: 0B059582
	v_mul_f32_e32 v131, v131, v203                             // 000000005AF4: 0B079783
	v_pk_mul_f32 v[4:5], v[132:133], v[132:133]                // 000000005AF8: D3B14004 18030984
	v_pk_mul_f32 v[6:7], v[134:135], v[134:135]                // 000000005B00: D3B14006 18030D86
	v_pk_fma_f32 v[4:5], v[4:5], s[78:79], v[8:9]              // 000000005B08: D3B04004 1C209D04
	v_pk_fma_f32 v[6:7], v[6:7], s[78:79], v[8:9]              // 000000005B10: D3B04006 1C209D06
	v_pk_mul_f32 v[4:5], v[4:5], v[132:133]                    // 000000005B18: D3B14004 18030904
	v_pk_mul_f32 v[6:7], v[6:7], v[134:135]                    // 000000005B20: D3B14006 18030D06
	v_pk_mul_f32 v[4:5], v[4:5], s[60:61]                      // 000000005B28: D3B14004 18007904
	v_pk_mul_f32 v[6:7], v[6:7], s[60:61]                      // 000000005B30: D3B14006 18007906
	v_exp_f32_e32 v4, v4                                       // 000000005B38: 7E084104
	v_exp_f32_e32 v5, v5                                       // 000000005B3C: 7E0A4105
	v_exp_f32_e32 v6, v6                                       // 000000005B40: 7E0C4106
	v_exp_f32_e32 v7, v7                                       // 000000005B44: 7E0E4107
	v_add_f32_e64 v4, v4, 1.0                                  // 000000005B48: D1010004 0001E504
	v_add_f32_e64 v5, v5, 1.0                                  // 000000005B50: D1010005 0001E505
	v_add_f32_e64 v6, v6, 1.0                                  // 000000005B58: D1010006 0001E506
	v_add_f32_e64 v7, v7, 1.0                                  // 000000005B60: D1010007 0001E507
	v_rcp_f32_e32 v4, v4                                       // 000000005B68: 7E084504
	v_rcp_f32_e32 v5, v5                                       // 000000005B6C: 7E0A4505
	v_rcp_f32_e32 v6, v6                                       // 000000005B70: 7E0C4506
	v_rcp_f32_e32 v7, v7                                       // 000000005B74: 7E0E4507
	v_mul_f32_e32 v132, v132, v4                               // 000000005B78: 0B080984
	v_mul_f32_e32 v133, v133, v5                               // 000000005B7C: 0B0A0B85
	v_mul_f32_e32 v134, v134, v6                               // 000000005B80: 0B0C0D86
	v_mul_f32_e32 v135, v135, v7                               // 000000005B84: 0B0E0F87
	v_mul_f32_e32 v132, v132, v204                             // 000000005B88: 0B099984
	v_mul_f32_e32 v133, v133, v205                             // 000000005B8C: 0B0B9B85
	v_mul_f32_e32 v134, v134, v206                             // 000000005B90: 0B0D9D86
	v_mul_f32_e32 v135, v135, v207                             // 000000005B94: 0B0F9F87
	v_pk_mul_f32 v[4:5], v[136:137], v[136:137]                // 000000005B98: D3B14004 18031188
	v_pk_mul_f32 v[6:7], v[138:139], v[138:139]                // 000000005BA0: D3B14006 1803158A
	v_pk_fma_f32 v[4:5], v[4:5], s[78:79], v[8:9]              // 000000005BA8: D3B04004 1C209D04
	v_pk_fma_f32 v[6:7], v[6:7], s[78:79], v[8:9]              // 000000005BB0: D3B04006 1C209D06
	v_pk_mul_f32 v[4:5], v[4:5], v[136:137]                    // 000000005BB8: D3B14004 18031104
	v_pk_mul_f32 v[6:7], v[6:7], v[138:139]                    // 000000005BC0: D3B14006 18031506
	v_pk_mul_f32 v[4:5], v[4:5], s[60:61]                      // 000000005BC8: D3B14004 18007904
	v_pk_mul_f32 v[6:7], v[6:7], s[60:61]                      // 000000005BD0: D3B14006 18007906
	v_exp_f32_e32 v4, v4                                       // 000000005BD8: 7E084104
	v_exp_f32_e32 v5, v5                                       // 000000005BDC: 7E0A4105
	v_exp_f32_e32 v6, v6                                       // 000000005BE0: 7E0C4106
	v_exp_f32_e32 v7, v7                                       // 000000005BE4: 7E0E4107
	v_add_f32_e64 v4, v4, 1.0                                  // 000000005BE8: D1010004 0001E504
	v_add_f32_e64 v5, v5, 1.0                                  // 000000005BF0: D1010005 0001E505
	v_add_f32_e64 v6, v6, 1.0                                  // 000000005BF8: D1010006 0001E506
	v_add_f32_e64 v7, v7, 1.0                                  // 000000005C00: D1010007 0001E507
	v_rcp_f32_e32 v4, v4                                       // 000000005C08: 7E084504
	v_rcp_f32_e32 v5, v5                                       // 000000005C0C: 7E0A4505
	v_rcp_f32_e32 v6, v6                                       // 000000005C10: 7E0C4506
	v_rcp_f32_e32 v7, v7                                       // 000000005C14: 7E0E4507
	v_mul_f32_e32 v136, v136, v4                               // 000000005C18: 0B100988
	v_mul_f32_e32 v137, v137, v5                               // 000000005C1C: 0B120B89
	v_mul_f32_e32 v138, v138, v6                               // 000000005C20: 0B140D8A
	v_mul_f32_e32 v139, v139, v7                               // 000000005C24: 0B160F8B
	v_mul_f32_e32 v136, v136, v208                             // 000000005C28: 0B11A188
	v_mul_f32_e32 v137, v137, v209                             // 000000005C2C: 0B13A389
	v_mul_f32_e32 v138, v138, v210                             // 000000005C30: 0B15A58A
	v_mul_f32_e32 v139, v139, v211                             // 000000005C34: 0B17A78B
	v_pk_mul_f32 v[4:5], v[140:141], v[140:141]                // 000000005C38: D3B14004 1803198C
	v_pk_mul_f32 v[6:7], v[142:143], v[142:143]                // 000000005C40: D3B14006 18031D8E
	v_pk_fma_f32 v[4:5], v[4:5], s[78:79], v[8:9]              // 000000005C48: D3B04004 1C209D04
	v_pk_fma_f32 v[6:7], v[6:7], s[78:79], v[8:9]              // 000000005C50: D3B04006 1C209D06
	v_pk_mul_f32 v[4:5], v[4:5], v[140:141]                    // 000000005C58: D3B14004 18031904
	v_pk_mul_f32 v[6:7], v[6:7], v[142:143]                    // 000000005C60: D3B14006 18031D06
	v_pk_mul_f32 v[4:5], v[4:5], s[60:61]                      // 000000005C68: D3B14004 18007904
	v_pk_mul_f32 v[6:7], v[6:7], s[60:61]                      // 000000005C70: D3B14006 18007906
	v_exp_f32_e32 v4, v4                                       // 000000005C78: 7E084104
	v_exp_f32_e32 v5, v5                                       // 000000005C7C: 7E0A4105
	v_exp_f32_e32 v6, v6                                       // 000000005C80: 7E0C4106
	v_exp_f32_e32 v7, v7                                       // 000000005C84: 7E0E4107
	v_add_f32_e64 v4, v4, 1.0                                  // 000000005C88: D1010004 0001E504
	v_add_f32_e64 v5, v5, 1.0                                  // 000000005C90: D1010005 0001E505
	v_add_f32_e64 v6, v6, 1.0                                  // 000000005C98: D1010006 0001E506
	v_add_f32_e64 v7, v7, 1.0                                  // 000000005CA0: D1010007 0001E507
	v_rcp_f32_e32 v4, v4                                       // 000000005CA8: 7E084504
	v_rcp_f32_e32 v5, v5                                       // 000000005CAC: 7E0A4505
	v_rcp_f32_e32 v6, v6                                       // 000000005CB0: 7E0C4506
	v_rcp_f32_e32 v7, v7                                       // 000000005CB4: 7E0E4507
	v_mul_f32_e32 v140, v140, v4                               // 000000005CB8: 0B18098C
	v_mul_f32_e32 v141, v141, v5                               // 000000005CBC: 0B1A0B8D
	v_mul_f32_e32 v142, v142, v6                               // 000000005CC0: 0B1C0D8E
	v_mul_f32_e32 v143, v143, v7                               // 000000005CC4: 0B1E0F8F
	v_mul_f32_e32 v140, v140, v212                             // 000000005CC8: 0B19A98C
	v_mul_f32_e32 v141, v141, v213                             // 000000005CCC: 0B1BAB8D
	v_mul_f32_e32 v142, v142, v214                             // 000000005CD0: 0B1DAD8E
	v_mul_f32_e32 v143, v143, v215                             // 000000005CD4: 0B1FAF8F
	v_pk_mul_f32 v[4:5], v[144:145], v[144:145]                // 000000005CD8: D3B14004 18032190
	v_pk_mul_f32 v[6:7], v[146:147], v[146:147]                // 000000005CE0: D3B14006 18032592
	v_pk_fma_f32 v[4:5], v[4:5], s[78:79], v[8:9]              // 000000005CE8: D3B04004 1C209D04
	v_pk_fma_f32 v[6:7], v[6:7], s[78:79], v[8:9]              // 000000005CF0: D3B04006 1C209D06
	v_pk_mul_f32 v[4:5], v[4:5], v[144:145]                    // 000000005CF8: D3B14004 18032104
	v_pk_mul_f32 v[6:7], v[6:7], v[146:147]                    // 000000005D00: D3B14006 18032506
	v_pk_mul_f32 v[4:5], v[4:5], s[60:61]                      // 000000005D08: D3B14004 18007904
	v_pk_mul_f32 v[6:7], v[6:7], s[60:61]                      // 000000005D10: D3B14006 18007906
	v_exp_f32_e32 v4, v4                                       // 000000005D18: 7E084104
	v_exp_f32_e32 v5, v5                                       // 000000005D1C: 7E0A4105
	v_exp_f32_e32 v6, v6                                       // 000000005D20: 7E0C4106
	v_exp_f32_e32 v7, v7                                       // 000000005D24: 7E0E4107
	v_add_f32_e64 v4, v4, 1.0                                  // 000000005D28: D1010004 0001E504
	v_add_f32_e64 v5, v5, 1.0                                  // 000000005D30: D1010005 0001E505
	v_add_f32_e64 v6, v6, 1.0                                  // 000000005D38: D1010006 0001E506
	v_add_f32_e64 v7, v7, 1.0                                  // 000000005D40: D1010007 0001E507
	v_rcp_f32_e32 v4, v4                                       // 000000005D48: 7E084504
	v_rcp_f32_e32 v5, v5                                       // 000000005D4C: 7E0A4505
	v_rcp_f32_e32 v6, v6                                       // 000000005D50: 7E0C4506
	v_rcp_f32_e32 v7, v7                                       // 000000005D54: 7E0E4507
	v_mul_f32_e32 v144, v144, v4                               // 000000005D58: 0B200990
	v_mul_f32_e32 v145, v145, v5                               // 000000005D5C: 0B220B91
	v_mul_f32_e32 v146, v146, v6                               // 000000005D60: 0B240D92
	v_mul_f32_e32 v147, v147, v7                               // 000000005D64: 0B260F93
	v_mul_f32_e32 v144, v144, v216                             // 000000005D68: 0B21B190
	v_mul_f32_e32 v145, v145, v217                             // 000000005D6C: 0B23B391
	v_mul_f32_e32 v146, v146, v218                             // 000000005D70: 0B25B592
	v_mul_f32_e32 v147, v147, v219                             // 000000005D74: 0B27B793
	v_pk_mul_f32 v[4:5], v[148:149], v[148:149]                // 000000005D78: D3B14004 18032994
	v_pk_mul_f32 v[6:7], v[150:151], v[150:151]                // 000000005D80: D3B14006 18032D96
	v_pk_fma_f32 v[4:5], v[4:5], s[78:79], v[8:9]              // 000000005D88: D3B04004 1C209D04
	v_pk_fma_f32 v[6:7], v[6:7], s[78:79], v[8:9]              // 000000005D90: D3B04006 1C209D06
	v_pk_mul_f32 v[4:5], v[4:5], v[148:149]                    // 000000005D98: D3B14004 18032904
	v_pk_mul_f32 v[6:7], v[6:7], v[150:151]                    // 000000005DA0: D3B14006 18032D06
	v_pk_mul_f32 v[4:5], v[4:5], s[60:61]                      // 000000005DA8: D3B14004 18007904
	v_pk_mul_f32 v[6:7], v[6:7], s[60:61]                      // 000000005DB0: D3B14006 18007906
	v_exp_f32_e32 v4, v4                                       // 000000005DB8: 7E084104
	v_exp_f32_e32 v5, v5                                       // 000000005DBC: 7E0A4105
	v_exp_f32_e32 v6, v6                                       // 000000005DC0: 7E0C4106
	v_exp_f32_e32 v7, v7                                       // 000000005DC4: 7E0E4107
	v_add_f32_e64 v4, v4, 1.0                                  // 000000005DC8: D1010004 0001E504
	v_add_f32_e64 v5, v5, 1.0                                  // 000000005DD0: D1010005 0001E505
	v_add_f32_e64 v6, v6, 1.0                                  // 000000005DD8: D1010006 0001E506
	v_add_f32_e64 v7, v7, 1.0                                  // 000000005DE0: D1010007 0001E507
	v_rcp_f32_e32 v4, v4                                       // 000000005DE8: 7E084504
	v_rcp_f32_e32 v5, v5                                       // 000000005DEC: 7E0A4505
	v_rcp_f32_e32 v6, v6                                       // 000000005DF0: 7E0C4506
	v_rcp_f32_e32 v7, v7                                       // 000000005DF4: 7E0E4507
	v_mul_f32_e32 v148, v148, v4                               // 000000005DF8: 0B280994
	v_mul_f32_e32 v149, v149, v5                               // 000000005DFC: 0B2A0B95
	v_mul_f32_e32 v150, v150, v6                               // 000000005E00: 0B2C0D96
	v_mul_f32_e32 v151, v151, v7                               // 000000005E04: 0B2E0F97
	v_mul_f32_e32 v148, v148, v220                             // 000000005E08: 0B29B994
	v_mul_f32_e32 v149, v149, v221                             // 000000005E0C: 0B2BBB95
	v_mul_f32_e32 v150, v150, v222                             // 000000005E10: 0B2DBD96
	v_mul_f32_e32 v151, v151, v223                             // 000000005E14: 0B2FBF97
	v_pk_mul_f32 v[4:5], v[152:153], v[152:153]                // 000000005E18: D3B14004 18033198
	v_pk_mul_f32 v[6:7], v[154:155], v[154:155]                // 000000005E20: D3B14006 1803359A
	v_pk_fma_f32 v[4:5], v[4:5], s[78:79], v[8:9]              // 000000005E28: D3B04004 1C209D04
	v_pk_fma_f32 v[6:7], v[6:7], s[78:79], v[8:9]              // 000000005E30: D3B04006 1C209D06
	v_pk_mul_f32 v[4:5], v[4:5], v[152:153]                    // 000000005E38: D3B14004 18033104
	v_pk_mul_f32 v[6:7], v[6:7], v[154:155]                    // 000000005E40: D3B14006 18033506
	v_pk_mul_f32 v[4:5], v[4:5], s[60:61]                      // 000000005E48: D3B14004 18007904
	v_pk_mul_f32 v[6:7], v[6:7], s[60:61]                      // 000000005E50: D3B14006 18007906
	v_exp_f32_e32 v4, v4                                       // 000000005E58: 7E084104
	v_exp_f32_e32 v5, v5                                       // 000000005E5C: 7E0A4105
	v_exp_f32_e32 v6, v6                                       // 000000005E60: 7E0C4106
	v_exp_f32_e32 v7, v7                                       // 000000005E64: 7E0E4107
	v_add_f32_e64 v4, v4, 1.0                                  // 000000005E68: D1010004 0001E504
	v_add_f32_e64 v5, v5, 1.0                                  // 000000005E70: D1010005 0001E505
	v_add_f32_e64 v6, v6, 1.0                                  // 000000005E78: D1010006 0001E506
	v_add_f32_e64 v7, v7, 1.0                                  // 000000005E80: D1010007 0001E507
	v_rcp_f32_e32 v4, v4                                       // 000000005E88: 7E084504
	v_rcp_f32_e32 v5, v5                                       // 000000005E8C: 7E0A4505
	v_rcp_f32_e32 v6, v6                                       // 000000005E90: 7E0C4506
	v_rcp_f32_e32 v7, v7                                       // 000000005E94: 7E0E4507
	v_mul_f32_e32 v152, v152, v4                               // 000000005E98: 0B300998
	v_mul_f32_e32 v153, v153, v5                               // 000000005E9C: 0B320B99
	v_mul_f32_e32 v154, v154, v6                               // 000000005EA0: 0B340D9A
	v_mul_f32_e32 v155, v155, v7                               // 000000005EA4: 0B360F9B
	v_mul_f32_e32 v152, v152, v224                             // 000000005EA8: 0B31C198
	v_mul_f32_e32 v153, v153, v225                             // 000000005EAC: 0B33C399
	v_mul_f32_e32 v154, v154, v226                             // 000000005EB0: 0B35C59A
	v_mul_f32_e32 v155, v155, v227                             // 000000005EB4: 0B37C79B
	s_branch label_0F6F                                        // 000000005EB8: BF820240

0000000000005ebc <label_0D2F>:
	v_mul_f32_e64 v4, -v84, s6                                 // 000000005EBC: D1050004 20000D54
	v_mul_f32_e64 v5, -v85, s6                                 // 000000005EC4: D1050005 20000D55
	v_mul_f32_e64 v6, -v86, s6                                 // 000000005ECC: D1050006 20000D56
	v_mul_f32_e64 v7, -v87, s6                                 // 000000005ED4: D1050007 20000D57
	v_exp_f32_e32 v4, v4                                       // 000000005EDC: 7E084104
	v_exp_f32_e32 v5, v5                                       // 000000005EE0: 7E0A4105
	v_exp_f32_e32 v6, v6                                       // 000000005EE4: 7E0C4106
	v_exp_f32_e32 v7, v7                                       // 000000005EE8: 7E0E4107
	v_add_f32_e64 v4, v4, 1.0                                  // 000000005EEC: D1010004 0001E504
	v_add_f32_e64 v5, v5, 1.0                                  // 000000005EF4: D1010005 0001E505
	v_add_f32_e64 v6, v6, 1.0                                  // 000000005EFC: D1010006 0001E506
	v_add_f32_e64 v7, v7, 1.0                                  // 000000005F04: D1010007 0001E507
	v_rcp_f32_e32 v4, v4                                       // 000000005F0C: 7E084504
	v_rcp_f32_e32 v5, v5                                       // 000000005F10: 7E0A4505
	v_rcp_f32_e32 v6, v6                                       // 000000005F14: 7E0C4506
	v_rcp_f32_e32 v7, v7                                       // 000000005F18: 7E0E4507
	v_mul_f32_e32 v84, v84, v4                                 // 000000005F1C: 0AA80954
	v_mul_f32_e32 v85, v85, v5                                 // 000000005F20: 0AAA0B55
	v_mul_f32_e32 v86, v86, v6                                 // 000000005F24: 0AAC0D56
	v_mul_f32_e32 v87, v87, v7                                 // 000000005F28: 0AAE0F57
	v_mul_f32_e32 v84, v84, v156                               // 000000005F2C: 0AA93954
	v_mul_f32_e32 v85, v85, v157                               // 000000005F30: 0AAB3B55
	v_mul_f32_e32 v86, v86, v158                               // 000000005F34: 0AAD3D56
	v_mul_f32_e32 v87, v87, v159                               // 000000005F38: 0AAF3F57
	v_mul_f32_e64 v4, -v88, s6                                 // 000000005F3C: D1050004 20000D58
	v_mul_f32_e64 v5, -v89, s6                                 // 000000005F44: D1050005 20000D59
	v_mul_f32_e64 v6, -v90, s6                                 // 000000005F4C: D1050006 20000D5A
	v_mul_f32_e64 v7, -v91, s6                                 // 000000005F54: D1050007 20000D5B
	v_exp_f32_e32 v4, v4                                       // 000000005F5C: 7E084104
	v_exp_f32_e32 v5, v5                                       // 000000005F60: 7E0A4105
	v_exp_f32_e32 v6, v6                                       // 000000005F64: 7E0C4106
	v_exp_f32_e32 v7, v7                                       // 000000005F68: 7E0E4107
	v_add_f32_e64 v4, v4, 1.0                                  // 000000005F6C: D1010004 0001E504
	v_add_f32_e64 v5, v5, 1.0                                  // 000000005F74: D1010005 0001E505
	v_add_f32_e64 v6, v6, 1.0                                  // 000000005F7C: D1010006 0001E506
	v_add_f32_e64 v7, v7, 1.0                                  // 000000005F84: D1010007 0001E507
	v_rcp_f32_e32 v4, v4                                       // 000000005F8C: 7E084504
	v_rcp_f32_e32 v5, v5                                       // 000000005F90: 7E0A4505
	v_rcp_f32_e32 v6, v6                                       // 000000005F94: 7E0C4506
	v_rcp_f32_e32 v7, v7                                       // 000000005F98: 7E0E4507
	v_mul_f32_e32 v88, v88, v4                                 // 000000005F9C: 0AB00958
	v_mul_f32_e32 v89, v89, v5                                 // 000000005FA0: 0AB20B59
	v_mul_f32_e32 v90, v90, v6                                 // 000000005FA4: 0AB40D5A
	v_mul_f32_e32 v91, v91, v7                                 // 000000005FA8: 0AB60F5B
	v_mul_f32_e32 v88, v88, v160                               // 000000005FAC: 0AB14158
	v_mul_f32_e32 v89, v89, v161                               // 000000005FB0: 0AB34359
	v_mul_f32_e32 v90, v90, v162                               // 000000005FB4: 0AB5455A
	v_mul_f32_e32 v91, v91, v163                               // 000000005FB8: 0AB7475B
	v_mul_f32_e64 v4, -v92, s6                                 // 000000005FBC: D1050004 20000D5C
	v_mul_f32_e64 v5, -v93, s6                                 // 000000005FC4: D1050005 20000D5D
	v_mul_f32_e64 v6, -v94, s6                                 // 000000005FCC: D1050006 20000D5E
	v_mul_f32_e64 v7, -v95, s6                                 // 000000005FD4: D1050007 20000D5F
	v_exp_f32_e32 v4, v4                                       // 000000005FDC: 7E084104
	v_exp_f32_e32 v5, v5                                       // 000000005FE0: 7E0A4105
	v_exp_f32_e32 v6, v6                                       // 000000005FE4: 7E0C4106
	v_exp_f32_e32 v7, v7                                       // 000000005FE8: 7E0E4107
	v_add_f32_e64 v4, v4, 1.0                                  // 000000005FEC: D1010004 0001E504
	v_add_f32_e64 v5, v5, 1.0                                  // 000000005FF4: D1010005 0001E505
	v_add_f32_e64 v6, v6, 1.0                                  // 000000005FFC: D1010006 0001E506
	v_add_f32_e64 v7, v7, 1.0                                  // 000000006004: D1010007 0001E507
	v_rcp_f32_e32 v4, v4                                       // 00000000600C: 7E084504
	v_rcp_f32_e32 v5, v5                                       // 000000006010: 7E0A4505
	v_rcp_f32_e32 v6, v6                                       // 000000006014: 7E0C4506
	v_rcp_f32_e32 v7, v7                                       // 000000006018: 7E0E4507
	v_mul_f32_e32 v92, v92, v4                                 // 00000000601C: 0AB8095C
	v_mul_f32_e32 v93, v93, v5                                 // 000000006020: 0ABA0B5D
	v_mul_f32_e32 v94, v94, v6                                 // 000000006024: 0ABC0D5E
	v_mul_f32_e32 v95, v95, v7                                 // 000000006028: 0ABE0F5F
	v_mul_f32_e32 v92, v92, v164                               // 00000000602C: 0AB9495C
	v_mul_f32_e32 v93, v93, v165                               // 000000006030: 0ABB4B5D
	v_mul_f32_e32 v94, v94, v166                               // 000000006034: 0ABD4D5E
	v_mul_f32_e32 v95, v95, v167                               // 000000006038: 0ABF4F5F
	v_mul_f32_e64 v4, -v96, s6                                 // 00000000603C: D1050004 20000D60
	v_mul_f32_e64 v5, -v97, s6                                 // 000000006044: D1050005 20000D61
	v_mul_f32_e64 v6, -v98, s6                                 // 00000000604C: D1050006 20000D62
	v_mul_f32_e64 v7, -v99, s6                                 // 000000006054: D1050007 20000D63
	v_exp_f32_e32 v4, v4                                       // 00000000605C: 7E084104
	v_exp_f32_e32 v5, v5                                       // 000000006060: 7E0A4105
	v_exp_f32_e32 v6, v6                                       // 000000006064: 7E0C4106
	v_exp_f32_e32 v7, v7                                       // 000000006068: 7E0E4107
	v_add_f32_e64 v4, v4, 1.0                                  // 00000000606C: D1010004 0001E504
	v_add_f32_e64 v5, v5, 1.0                                  // 000000006074: D1010005 0001E505
	v_add_f32_e64 v6, v6, 1.0                                  // 00000000607C: D1010006 0001E506
	v_add_f32_e64 v7, v7, 1.0                                  // 000000006084: D1010007 0001E507
	v_rcp_f32_e32 v4, v4                                       // 00000000608C: 7E084504
	v_rcp_f32_e32 v5, v5                                       // 000000006090: 7E0A4505
	v_rcp_f32_e32 v6, v6                                       // 000000006094: 7E0C4506
	v_rcp_f32_e32 v7, v7                                       // 000000006098: 7E0E4507
	v_mul_f32_e32 v96, v96, v4                                 // 00000000609C: 0AC00960
	v_mul_f32_e32 v97, v97, v5                                 // 0000000060A0: 0AC20B61
	v_mul_f32_e32 v98, v98, v6                                 // 0000000060A4: 0AC40D62
	v_mul_f32_e32 v99, v99, v7                                 // 0000000060A8: 0AC60F63
	v_mul_f32_e32 v96, v96, v168                               // 0000000060AC: 0AC15160
	v_mul_f32_e32 v97, v97, v169                               // 0000000060B0: 0AC35361
	v_mul_f32_e32 v98, v98, v170                               // 0000000060B4: 0AC55562
	v_mul_f32_e32 v99, v99, v171                               // 0000000060B8: 0AC75763
	v_mul_f32_e64 v4, -v100, s6                                // 0000000060BC: D1050004 20000D64
	v_mul_f32_e64 v5, -v101, s6                                // 0000000060C4: D1050005 20000D65
	v_mul_f32_e64 v6, -v102, s6                                // 0000000060CC: D1050006 20000D66
	v_mul_f32_e64 v7, -v103, s6                                // 0000000060D4: D1050007 20000D67
	v_exp_f32_e32 v4, v4                                       // 0000000060DC: 7E084104
	v_exp_f32_e32 v5, v5                                       // 0000000060E0: 7E0A4105
	v_exp_f32_e32 v6, v6                                       // 0000000060E4: 7E0C4106
	v_exp_f32_e32 v7, v7                                       // 0000000060E8: 7E0E4107
	v_add_f32_e64 v4, v4, 1.0                                  // 0000000060EC: D1010004 0001E504
	v_add_f32_e64 v5, v5, 1.0                                  // 0000000060F4: D1010005 0001E505
	v_add_f32_e64 v6, v6, 1.0                                  // 0000000060FC: D1010006 0001E506
	v_add_f32_e64 v7, v7, 1.0                                  // 000000006104: D1010007 0001E507
	v_rcp_f32_e32 v4, v4                                       // 00000000610C: 7E084504
	v_rcp_f32_e32 v5, v5                                       // 000000006110: 7E0A4505
	v_rcp_f32_e32 v6, v6                                       // 000000006114: 7E0C4506
	v_rcp_f32_e32 v7, v7                                       // 000000006118: 7E0E4507
	v_mul_f32_e32 v100, v100, v4                               // 00000000611C: 0AC80964
	v_mul_f32_e32 v101, v101, v5                               // 000000006120: 0ACA0B65
	v_mul_f32_e32 v102, v102, v6                               // 000000006124: 0ACC0D66
	v_mul_f32_e32 v103, v103, v7                               // 000000006128: 0ACE0F67
	v_mul_f32_e32 v100, v100, v172                             // 00000000612C: 0AC95964
	v_mul_f32_e32 v101, v101, v173                             // 000000006130: 0ACB5B65
	v_mul_f32_e32 v102, v102, v174                             // 000000006134: 0ACD5D66
	v_mul_f32_e32 v103, v103, v175                             // 000000006138: 0ACF5F67
	v_mul_f32_e64 v4, -v104, s6                                // 00000000613C: D1050004 20000D68
	v_mul_f32_e64 v5, -v105, s6                                // 000000006144: D1050005 20000D69
	v_mul_f32_e64 v6, -v106, s6                                // 00000000614C: D1050006 20000D6A
	v_mul_f32_e64 v7, -v107, s6                                // 000000006154: D1050007 20000D6B
	v_exp_f32_e32 v4, v4                                       // 00000000615C: 7E084104
	v_exp_f32_e32 v5, v5                                       // 000000006160: 7E0A4105
	v_exp_f32_e32 v6, v6                                       // 000000006164: 7E0C4106
	v_exp_f32_e32 v7, v7                                       // 000000006168: 7E0E4107
	v_add_f32_e64 v4, v4, 1.0                                  // 00000000616C: D1010004 0001E504
	v_add_f32_e64 v5, v5, 1.0                                  // 000000006174: D1010005 0001E505
	v_add_f32_e64 v6, v6, 1.0                                  // 00000000617C: D1010006 0001E506
	v_add_f32_e64 v7, v7, 1.0                                  // 000000006184: D1010007 0001E507
	v_rcp_f32_e32 v4, v4                                       // 00000000618C: 7E084504
	v_rcp_f32_e32 v5, v5                                       // 000000006190: 7E0A4505
	v_rcp_f32_e32 v6, v6                                       // 000000006194: 7E0C4506
	v_rcp_f32_e32 v7, v7                                       // 000000006198: 7E0E4507
	v_mul_f32_e32 v104, v104, v4                               // 00000000619C: 0AD00968
	v_mul_f32_e32 v105, v105, v5                               // 0000000061A0: 0AD20B69
	v_mul_f32_e32 v106, v106, v6                               // 0000000061A4: 0AD40D6A
	v_mul_f32_e32 v107, v107, v7                               // 0000000061A8: 0AD60F6B
	v_mul_f32_e32 v104, v104, v176                             // 0000000061AC: 0AD16168
	v_mul_f32_e32 v105, v105, v177                             // 0000000061B0: 0AD36369
	v_mul_f32_e32 v106, v106, v178                             // 0000000061B4: 0AD5656A
	v_mul_f32_e32 v107, v107, v179                             // 0000000061B8: 0AD7676B
	v_mul_f32_e64 v4, -v108, s6                                // 0000000061BC: D1050004 20000D6C
	v_mul_f32_e64 v5, -v109, s6                                // 0000000061C4: D1050005 20000D6D
	v_mul_f32_e64 v6, -v110, s6                                // 0000000061CC: D1050006 20000D6E
	v_mul_f32_e64 v7, -v111, s6                                // 0000000061D4: D1050007 20000D6F
	v_exp_f32_e32 v4, v4                                       // 0000000061DC: 7E084104
	v_exp_f32_e32 v5, v5                                       // 0000000061E0: 7E0A4105
	v_exp_f32_e32 v6, v6                                       // 0000000061E4: 7E0C4106
	v_exp_f32_e32 v7, v7                                       // 0000000061E8: 7E0E4107
	v_add_f32_e64 v4, v4, 1.0                                  // 0000000061EC: D1010004 0001E504
	v_add_f32_e64 v5, v5, 1.0                                  // 0000000061F4: D1010005 0001E505
	v_add_f32_e64 v6, v6, 1.0                                  // 0000000061FC: D1010006 0001E506
	v_add_f32_e64 v7, v7, 1.0                                  // 000000006204: D1010007 0001E507
	v_rcp_f32_e32 v4, v4                                       // 00000000620C: 7E084504
	v_rcp_f32_e32 v5, v5                                       // 000000006210: 7E0A4505
	v_rcp_f32_e32 v6, v6                                       // 000000006214: 7E0C4506
	v_rcp_f32_e32 v7, v7                                       // 000000006218: 7E0E4507
	v_mul_f32_e32 v108, v108, v4                               // 00000000621C: 0AD8096C
	v_mul_f32_e32 v109, v109, v5                               // 000000006220: 0ADA0B6D
	v_mul_f32_e32 v110, v110, v6                               // 000000006224: 0ADC0D6E
	v_mul_f32_e32 v111, v111, v7                               // 000000006228: 0ADE0F6F
	v_mul_f32_e32 v108, v108, v180                             // 00000000622C: 0AD9696C
	v_mul_f32_e32 v109, v109, v181                             // 000000006230: 0ADB6B6D
	v_mul_f32_e32 v110, v110, v182                             // 000000006234: 0ADD6D6E
	v_mul_f32_e32 v111, v111, v183                             // 000000006238: 0ADF6F6F
	v_mul_f32_e64 v4, -v112, s6                                // 00000000623C: D1050004 20000D70
	v_mul_f32_e64 v5, -v113, s6                                // 000000006244: D1050005 20000D71
	v_mul_f32_e64 v6, -v114, s6                                // 00000000624C: D1050006 20000D72
	v_mul_f32_e64 v7, -v115, s6                                // 000000006254: D1050007 20000D73
	v_exp_f32_e32 v4, v4                                       // 00000000625C: 7E084104
	v_exp_f32_e32 v5, v5                                       // 000000006260: 7E0A4105
	v_exp_f32_e32 v6, v6                                       // 000000006264: 7E0C4106
	v_exp_f32_e32 v7, v7                                       // 000000006268: 7E0E4107
	v_add_f32_e64 v4, v4, 1.0                                  // 00000000626C: D1010004 0001E504
	v_add_f32_e64 v5, v5, 1.0                                  // 000000006274: D1010005 0001E505
	v_add_f32_e64 v6, v6, 1.0                                  // 00000000627C: D1010006 0001E506
	v_add_f32_e64 v7, v7, 1.0                                  // 000000006284: D1010007 0001E507
	v_rcp_f32_e32 v4, v4                                       // 00000000628C: 7E084504
	v_rcp_f32_e32 v5, v5                                       // 000000006290: 7E0A4505
	v_rcp_f32_e32 v6, v6                                       // 000000006294: 7E0C4506
	v_rcp_f32_e32 v7, v7                                       // 000000006298: 7E0E4507
	v_mul_f32_e32 v112, v112, v4                               // 00000000629C: 0AE00970
	v_mul_f32_e32 v113, v113, v5                               // 0000000062A0: 0AE20B71
	v_mul_f32_e32 v114, v114, v6                               // 0000000062A4: 0AE40D72
	v_mul_f32_e32 v115, v115, v7                               // 0000000062A8: 0AE60F73
	v_mul_f32_e32 v112, v112, v184                             // 0000000062AC: 0AE17170
	v_mul_f32_e32 v113, v113, v185                             // 0000000062B0: 0AE37371
	v_mul_f32_e32 v114, v114, v186                             // 0000000062B4: 0AE57572
	v_mul_f32_e32 v115, v115, v187                             // 0000000062B8: 0AE77773
	v_mul_f32_e64 v4, -v116, s6                                // 0000000062BC: D1050004 20000D74
	v_mul_f32_e64 v5, -v117, s6                                // 0000000062C4: D1050005 20000D75
	v_mul_f32_e64 v6, -v118, s6                                // 0000000062CC: D1050006 20000D76
	v_mul_f32_e64 v7, -v119, s6                                // 0000000062D4: D1050007 20000D77
	v_exp_f32_e32 v4, v4                                       // 0000000062DC: 7E084104
	v_exp_f32_e32 v5, v5                                       // 0000000062E0: 7E0A4105
	v_exp_f32_e32 v6, v6                                       // 0000000062E4: 7E0C4106
	v_exp_f32_e32 v7, v7                                       // 0000000062E8: 7E0E4107
	v_add_f32_e64 v4, v4, 1.0                                  // 0000000062EC: D1010004 0001E504
	v_add_f32_e64 v5, v5, 1.0                                  // 0000000062F4: D1010005 0001E505
	v_add_f32_e64 v6, v6, 1.0                                  // 0000000062FC: D1010006 0001E506
	v_add_f32_e64 v7, v7, 1.0                                  // 000000006304: D1010007 0001E507
	v_rcp_f32_e32 v4, v4                                       // 00000000630C: 7E084504
	v_rcp_f32_e32 v5, v5                                       // 000000006310: 7E0A4505
	v_rcp_f32_e32 v6, v6                                       // 000000006314: 7E0C4506
	v_rcp_f32_e32 v7, v7                                       // 000000006318: 7E0E4507
	v_mul_f32_e32 v116, v116, v4                               // 00000000631C: 0AE80974
	v_mul_f32_e32 v117, v117, v5                               // 000000006320: 0AEA0B75
	v_mul_f32_e32 v118, v118, v6                               // 000000006324: 0AEC0D76
	v_mul_f32_e32 v119, v119, v7                               // 000000006328: 0AEE0F77
	v_mul_f32_e32 v116, v116, v188                             // 00000000632C: 0AE97974
	v_mul_f32_e32 v117, v117, v189                             // 000000006330: 0AEB7B75
	v_mul_f32_e32 v118, v118, v190                             // 000000006334: 0AED7D76
	v_mul_f32_e32 v119, v119, v191                             // 000000006338: 0AEF7F77
	v_mul_f32_e64 v4, -v120, s6                                // 00000000633C: D1050004 20000D78
	v_mul_f32_e64 v5, -v121, s6                                // 000000006344: D1050005 20000D79
	v_mul_f32_e64 v6, -v122, s6                                // 00000000634C: D1050006 20000D7A
	v_mul_f32_e64 v7, -v123, s6                                // 000000006354: D1050007 20000D7B
	v_exp_f32_e32 v4, v4                                       // 00000000635C: 7E084104
	v_exp_f32_e32 v5, v5                                       // 000000006360: 7E0A4105
	v_exp_f32_e32 v6, v6                                       // 000000006364: 7E0C4106
	v_exp_f32_e32 v7, v7                                       // 000000006368: 7E0E4107
	v_add_f32_e64 v4, v4, 1.0                                  // 00000000636C: D1010004 0001E504
	v_add_f32_e64 v5, v5, 1.0                                  // 000000006374: D1010005 0001E505
	v_add_f32_e64 v6, v6, 1.0                                  // 00000000637C: D1010006 0001E506
	v_add_f32_e64 v7, v7, 1.0                                  // 000000006384: D1010007 0001E507
	v_rcp_f32_e32 v4, v4                                       // 00000000638C: 7E084504
	v_rcp_f32_e32 v5, v5                                       // 000000006390: 7E0A4505
	v_rcp_f32_e32 v6, v6                                       // 000000006394: 7E0C4506
	v_rcp_f32_e32 v7, v7                                       // 000000006398: 7E0E4507
	v_mul_f32_e32 v120, v120, v4                               // 00000000639C: 0AF00978
	v_mul_f32_e32 v121, v121, v5                               // 0000000063A0: 0AF20B79
	v_mul_f32_e32 v122, v122, v6                               // 0000000063A4: 0AF40D7A
	v_mul_f32_e32 v123, v123, v7                               // 0000000063A8: 0AF60F7B
	v_mul_f32_e32 v120, v120, v192                             // 0000000063AC: 0AF18178
	v_mul_f32_e32 v121, v121, v193                             // 0000000063B0: 0AF38379
	v_mul_f32_e32 v122, v122, v194                             // 0000000063B4: 0AF5857A
	v_mul_f32_e32 v123, v123, v195                             // 0000000063B8: 0AF7877B
	v_mul_f32_e64 v4, -v124, s6                                // 0000000063BC: D1050004 20000D7C
	v_mul_f32_e64 v5, -v125, s6                                // 0000000063C4: D1050005 20000D7D
	v_mul_f32_e64 v6, -v126, s6                                // 0000000063CC: D1050006 20000D7E
	v_mul_f32_e64 v7, -v127, s6                                // 0000000063D4: D1050007 20000D7F
	v_exp_f32_e32 v4, v4                                       // 0000000063DC: 7E084104
	v_exp_f32_e32 v5, v5                                       // 0000000063E0: 7E0A4105
	v_exp_f32_e32 v6, v6                                       // 0000000063E4: 7E0C4106
	v_exp_f32_e32 v7, v7                                       // 0000000063E8: 7E0E4107
	v_add_f32_e64 v4, v4, 1.0                                  // 0000000063EC: D1010004 0001E504
	v_add_f32_e64 v5, v5, 1.0                                  // 0000000063F4: D1010005 0001E505
	v_add_f32_e64 v6, v6, 1.0                                  // 0000000063FC: D1010006 0001E506
	v_add_f32_e64 v7, v7, 1.0                                  // 000000006404: D1010007 0001E507
	v_rcp_f32_e32 v4, v4                                       // 00000000640C: 7E084504
	v_rcp_f32_e32 v5, v5                                       // 000000006410: 7E0A4505
	v_rcp_f32_e32 v6, v6                                       // 000000006414: 7E0C4506
	v_rcp_f32_e32 v7, v7                                       // 000000006418: 7E0E4507
	v_mul_f32_e32 v124, v124, v4                               // 00000000641C: 0AF8097C
	v_mul_f32_e32 v125, v125, v5                               // 000000006420: 0AFA0B7D
	v_mul_f32_e32 v126, v126, v6                               // 000000006424: 0AFC0D7E
	v_mul_f32_e32 v127, v127, v7                               // 000000006428: 0AFE0F7F
	v_mul_f32_e32 v124, v124, v196                             // 00000000642C: 0AF9897C
	v_mul_f32_e32 v125, v125, v197                             // 000000006430: 0AFB8B7D
	v_mul_f32_e32 v126, v126, v198                             // 000000006434: 0AFD8D7E
	v_mul_f32_e32 v127, v127, v199                             // 000000006438: 0AFF8F7F
	v_mul_f32_e64 v4, -v128, s6                                // 00000000643C: D1050004 20000D80
	v_mul_f32_e64 v5, -v129, s6                                // 000000006444: D1050005 20000D81
	v_mul_f32_e64 v6, -v130, s6                                // 00000000644C: D1050006 20000D82
	v_mul_f32_e64 v7, -v131, s6                                // 000000006454: D1050007 20000D83
	v_exp_f32_e32 v4, v4                                       // 00000000645C: 7E084104
	v_exp_f32_e32 v5, v5                                       // 000000006460: 7E0A4105
	v_exp_f32_e32 v6, v6                                       // 000000006464: 7E0C4106
	v_exp_f32_e32 v7, v7                                       // 000000006468: 7E0E4107
	v_add_f32_e64 v4, v4, 1.0                                  // 00000000646C: D1010004 0001E504
	v_add_f32_e64 v5, v5, 1.0                                  // 000000006474: D1010005 0001E505
	v_add_f32_e64 v6, v6, 1.0                                  // 00000000647C: D1010006 0001E506
	v_add_f32_e64 v7, v7, 1.0                                  // 000000006484: D1010007 0001E507
	v_rcp_f32_e32 v4, v4                                       // 00000000648C: 7E084504
	v_rcp_f32_e32 v5, v5                                       // 000000006490: 7E0A4505
	v_rcp_f32_e32 v6, v6                                       // 000000006494: 7E0C4506
	v_rcp_f32_e32 v7, v7                                       // 000000006498: 7E0E4507
	v_mul_f32_e32 v128, v128, v4                               // 00000000649C: 0B000980
	v_mul_f32_e32 v129, v129, v5                               // 0000000064A0: 0B020B81
	v_mul_f32_e32 v130, v130, v6                               // 0000000064A4: 0B040D82
	v_mul_f32_e32 v131, v131, v7                               // 0000000064A8: 0B060F83
	v_mul_f32_e32 v128, v128, v200                             // 0000000064AC: 0B019180
	v_mul_f32_e32 v129, v129, v201                             // 0000000064B0: 0B039381
	v_mul_f32_e32 v130, v130, v202                             // 0000000064B4: 0B059582
	v_mul_f32_e32 v131, v131, v203                             // 0000000064B8: 0B079783
	v_mul_f32_e64 v4, -v132, s6                                // 0000000064BC: D1050004 20000D84
	v_mul_f32_e64 v5, -v133, s6                                // 0000000064C4: D1050005 20000D85
	v_mul_f32_e64 v6, -v134, s6                                // 0000000064CC: D1050006 20000D86
	v_mul_f32_e64 v7, -v135, s6                                // 0000000064D4: D1050007 20000D87
	v_exp_f32_e32 v4, v4                                       // 0000000064DC: 7E084104
	v_exp_f32_e32 v5, v5                                       // 0000000064E0: 7E0A4105
	v_exp_f32_e32 v6, v6                                       // 0000000064E4: 7E0C4106
	v_exp_f32_e32 v7, v7                                       // 0000000064E8: 7E0E4107
	v_add_f32_e64 v4, v4, 1.0                                  // 0000000064EC: D1010004 0001E504
	v_add_f32_e64 v5, v5, 1.0                                  // 0000000064F4: D1010005 0001E505
	v_add_f32_e64 v6, v6, 1.0                                  // 0000000064FC: D1010006 0001E506
	v_add_f32_e64 v7, v7, 1.0                                  // 000000006504: D1010007 0001E507
	v_rcp_f32_e32 v4, v4                                       // 00000000650C: 7E084504
	v_rcp_f32_e32 v5, v5                                       // 000000006510: 7E0A4505
	v_rcp_f32_e32 v6, v6                                       // 000000006514: 7E0C4506
	v_rcp_f32_e32 v7, v7                                       // 000000006518: 7E0E4507
	v_mul_f32_e32 v132, v132, v4                               // 00000000651C: 0B080984
	v_mul_f32_e32 v133, v133, v5                               // 000000006520: 0B0A0B85
	v_mul_f32_e32 v134, v134, v6                               // 000000006524: 0B0C0D86
	v_mul_f32_e32 v135, v135, v7                               // 000000006528: 0B0E0F87
	v_mul_f32_e32 v132, v132, v204                             // 00000000652C: 0B099984
	v_mul_f32_e32 v133, v133, v205                             // 000000006530: 0B0B9B85
	v_mul_f32_e32 v134, v134, v206                             // 000000006534: 0B0D9D86
	v_mul_f32_e32 v135, v135, v207                             // 000000006538: 0B0F9F87
	v_mul_f32_e64 v4, -v136, s6                                // 00000000653C: D1050004 20000D88
	v_mul_f32_e64 v5, -v137, s6                                // 000000006544: D1050005 20000D89
	v_mul_f32_e64 v6, -v138, s6                                // 00000000654C: D1050006 20000D8A
	v_mul_f32_e64 v7, -v139, s6                                // 000000006554: D1050007 20000D8B
	v_exp_f32_e32 v4, v4                                       // 00000000655C: 7E084104
	v_exp_f32_e32 v5, v5                                       // 000000006560: 7E0A4105
	v_exp_f32_e32 v6, v6                                       // 000000006564: 7E0C4106
	v_exp_f32_e32 v7, v7                                       // 000000006568: 7E0E4107
	v_add_f32_e64 v4, v4, 1.0                                  // 00000000656C: D1010004 0001E504
	v_add_f32_e64 v5, v5, 1.0                                  // 000000006574: D1010005 0001E505
	v_add_f32_e64 v6, v6, 1.0                                  // 00000000657C: D1010006 0001E506
	v_add_f32_e64 v7, v7, 1.0                                  // 000000006584: D1010007 0001E507
	v_rcp_f32_e32 v4, v4                                       // 00000000658C: 7E084504
	v_rcp_f32_e32 v5, v5                                       // 000000006590: 7E0A4505
	v_rcp_f32_e32 v6, v6                                       // 000000006594: 7E0C4506
	v_rcp_f32_e32 v7, v7                                       // 000000006598: 7E0E4507
	v_mul_f32_e32 v136, v136, v4                               // 00000000659C: 0B100988
	v_mul_f32_e32 v137, v137, v5                               // 0000000065A0: 0B120B89
	v_mul_f32_e32 v138, v138, v6                               // 0000000065A4: 0B140D8A
	v_mul_f32_e32 v139, v139, v7                               // 0000000065A8: 0B160F8B
	v_mul_f32_e32 v136, v136, v208                             // 0000000065AC: 0B11A188
	v_mul_f32_e32 v137, v137, v209                             // 0000000065B0: 0B13A389
	v_mul_f32_e32 v138, v138, v210                             // 0000000065B4: 0B15A58A
	v_mul_f32_e32 v139, v139, v211                             // 0000000065B8: 0B17A78B
	v_mul_f32_e64 v4, -v140, s6                                // 0000000065BC: D1050004 20000D8C
	v_mul_f32_e64 v5, -v141, s6                                // 0000000065C4: D1050005 20000D8D
	v_mul_f32_e64 v6, -v142, s6                                // 0000000065CC: D1050006 20000D8E
	v_mul_f32_e64 v7, -v143, s6                                // 0000000065D4: D1050007 20000D8F
	v_exp_f32_e32 v4, v4                                       // 0000000065DC: 7E084104
	v_exp_f32_e32 v5, v5                                       // 0000000065E0: 7E0A4105
	v_exp_f32_e32 v6, v6                                       // 0000000065E4: 7E0C4106
	v_exp_f32_e32 v7, v7                                       // 0000000065E8: 7E0E4107
	v_add_f32_e64 v4, v4, 1.0                                  // 0000000065EC: D1010004 0001E504
	v_add_f32_e64 v5, v5, 1.0                                  // 0000000065F4: D1010005 0001E505
	v_add_f32_e64 v6, v6, 1.0                                  // 0000000065FC: D1010006 0001E506
	v_add_f32_e64 v7, v7, 1.0                                  // 000000006604: D1010007 0001E507
	v_rcp_f32_e32 v4, v4                                       // 00000000660C: 7E084504
	v_rcp_f32_e32 v5, v5                                       // 000000006610: 7E0A4505
	v_rcp_f32_e32 v6, v6                                       // 000000006614: 7E0C4506
	v_rcp_f32_e32 v7, v7                                       // 000000006618: 7E0E4507
	v_mul_f32_e32 v140, v140, v4                               // 00000000661C: 0B18098C
	v_mul_f32_e32 v141, v141, v5                               // 000000006620: 0B1A0B8D
	v_mul_f32_e32 v142, v142, v6                               // 000000006624: 0B1C0D8E
	v_mul_f32_e32 v143, v143, v7                               // 000000006628: 0B1E0F8F
	v_mul_f32_e32 v140, v140, v212                             // 00000000662C: 0B19A98C
	v_mul_f32_e32 v141, v141, v213                             // 000000006630: 0B1BAB8D
	v_mul_f32_e32 v142, v142, v214                             // 000000006634: 0B1DAD8E
	v_mul_f32_e32 v143, v143, v215                             // 000000006638: 0B1FAF8F
	v_mul_f32_e64 v4, -v144, s6                                // 00000000663C: D1050004 20000D90
	v_mul_f32_e64 v5, -v145, s6                                // 000000006644: D1050005 20000D91
	v_mul_f32_e64 v6, -v146, s6                                // 00000000664C: D1050006 20000D92
	v_mul_f32_e64 v7, -v147, s6                                // 000000006654: D1050007 20000D93
	v_exp_f32_e32 v4, v4                                       // 00000000665C: 7E084104
	v_exp_f32_e32 v5, v5                                       // 000000006660: 7E0A4105
	v_exp_f32_e32 v6, v6                                       // 000000006664: 7E0C4106
	v_exp_f32_e32 v7, v7                                       // 000000006668: 7E0E4107
	v_add_f32_e64 v4, v4, 1.0                                  // 00000000666C: D1010004 0001E504
	v_add_f32_e64 v5, v5, 1.0                                  // 000000006674: D1010005 0001E505
	v_add_f32_e64 v6, v6, 1.0                                  // 00000000667C: D1010006 0001E506
	v_add_f32_e64 v7, v7, 1.0                                  // 000000006684: D1010007 0001E507
	v_rcp_f32_e32 v4, v4                                       // 00000000668C: 7E084504
	v_rcp_f32_e32 v5, v5                                       // 000000006690: 7E0A4505
	v_rcp_f32_e32 v6, v6                                       // 000000006694: 7E0C4506
	v_rcp_f32_e32 v7, v7                                       // 000000006698: 7E0E4507
	v_mul_f32_e32 v144, v144, v4                               // 00000000669C: 0B200990
	v_mul_f32_e32 v145, v145, v5                               // 0000000066A0: 0B220B91
	v_mul_f32_e32 v146, v146, v6                               // 0000000066A4: 0B240D92
	v_mul_f32_e32 v147, v147, v7                               // 0000000066A8: 0B260F93
	v_mul_f32_e32 v144, v144, v216                             // 0000000066AC: 0B21B190
	v_mul_f32_e32 v145, v145, v217                             // 0000000066B0: 0B23B391
	v_mul_f32_e32 v146, v146, v218                             // 0000000066B4: 0B25B592
	v_mul_f32_e32 v147, v147, v219                             // 0000000066B8: 0B27B793
	v_mul_f32_e64 v4, -v148, s6                                // 0000000066BC: D1050004 20000D94
	v_mul_f32_e64 v5, -v149, s6                                // 0000000066C4: D1050005 20000D95
	v_mul_f32_e64 v6, -v150, s6                                // 0000000066CC: D1050006 20000D96
	v_mul_f32_e64 v7, -v151, s6                                // 0000000066D4: D1050007 20000D97
	v_exp_f32_e32 v4, v4                                       // 0000000066DC: 7E084104
	v_exp_f32_e32 v5, v5                                       // 0000000066E0: 7E0A4105
	v_exp_f32_e32 v6, v6                                       // 0000000066E4: 7E0C4106
	v_exp_f32_e32 v7, v7                                       // 0000000066E8: 7E0E4107
	v_add_f32_e64 v4, v4, 1.0                                  // 0000000066EC: D1010004 0001E504
	v_add_f32_e64 v5, v5, 1.0                                  // 0000000066F4: D1010005 0001E505
	v_add_f32_e64 v6, v6, 1.0                                  // 0000000066FC: D1010006 0001E506
	v_add_f32_e64 v7, v7, 1.0                                  // 000000006704: D1010007 0001E507
	v_rcp_f32_e32 v4, v4                                       // 00000000670C: 7E084504
	v_rcp_f32_e32 v5, v5                                       // 000000006710: 7E0A4505
	v_rcp_f32_e32 v6, v6                                       // 000000006714: 7E0C4506
	v_rcp_f32_e32 v7, v7                                       // 000000006718: 7E0E4507
	v_mul_f32_e32 v148, v148, v4                               // 00000000671C: 0B280994
	v_mul_f32_e32 v149, v149, v5                               // 000000006720: 0B2A0B95
	v_mul_f32_e32 v150, v150, v6                               // 000000006724: 0B2C0D96
	v_mul_f32_e32 v151, v151, v7                               // 000000006728: 0B2E0F97
	v_mul_f32_e32 v148, v148, v220                             // 00000000672C: 0B29B994
	v_mul_f32_e32 v149, v149, v221                             // 000000006730: 0B2BBB95
	v_mul_f32_e32 v150, v150, v222                             // 000000006734: 0B2DBD96
	v_mul_f32_e32 v151, v151, v223                             // 000000006738: 0B2FBF97
	v_mul_f32_e64 v4, -v152, s6                                // 00000000673C: D1050004 20000D98
	v_mul_f32_e64 v5, -v153, s6                                // 000000006744: D1050005 20000D99
	v_mul_f32_e64 v6, -v154, s6                                // 00000000674C: D1050006 20000D9A
	v_mul_f32_e64 v7, -v155, s6                                // 000000006754: D1050007 20000D9B
	v_exp_f32_e32 v4, v4                                       // 00000000675C: 7E084104
	v_exp_f32_e32 v5, v5                                       // 000000006760: 7E0A4105
	v_exp_f32_e32 v6, v6                                       // 000000006764: 7E0C4106
	v_exp_f32_e32 v7, v7                                       // 000000006768: 7E0E4107
	v_add_f32_e64 v4, v4, 1.0                                  // 00000000676C: D1010004 0001E504
	v_add_f32_e64 v5, v5, 1.0                                  // 000000006774: D1010005 0001E505
	v_add_f32_e64 v6, v6, 1.0                                  // 00000000677C: D1010006 0001E506
	v_add_f32_e64 v7, v7, 1.0                                  // 000000006784: D1010007 0001E507
	v_rcp_f32_e32 v4, v4                                       // 00000000678C: 7E084504
	v_rcp_f32_e32 v5, v5                                       // 000000006790: 7E0A4505
	v_rcp_f32_e32 v6, v6                                       // 000000006794: 7E0C4506
	v_rcp_f32_e32 v7, v7                                       // 000000006798: 7E0E4507
	v_mul_f32_e32 v152, v152, v4                               // 00000000679C: 0B300998
	v_mul_f32_e32 v153, v153, v5                               // 0000000067A0: 0B320B99
	v_mul_f32_e32 v154, v154, v6                               // 0000000067A4: 0B340D9A
	v_mul_f32_e32 v155, v155, v7                               // 0000000067A8: 0B360F9B
	v_mul_f32_e32 v152, v152, v224                             // 0000000067AC: 0B31C198
	v_mul_f32_e32 v153, v153, v225                             // 0000000067B0: 0B33C399
	v_mul_f32_e32 v154, v154, v226                             // 0000000067B4: 0B35C59A
	v_mul_f32_e32 v155, v155, v227                             // 0000000067B8: 0B37C79B

00000000000067bc <label_0F6F>:
	s_cmp_eq_u32 s7, 0                                         // 0000000067BC: BF068007
	s_cbranch_scc0 label_0F8E                                  // 0000000067C0: BF84001D
	v_and_b32_e32 v4, 15, v0                                   // 0000000067C4: 2608008F
	v_lshlrev_b32_e32 v4, 2, v4                                // 0000000067C8: 24080882
	buffer_load_dword v28, v4, s[12:15], 0 offen               // 0000000067CC: E0501000 80031C04
	v_add_u32_e32 v4, 64, v4                                   // 0000000067D4: 680808C0
	buffer_load_dword v29, v4, s[12:15], 0 offen               // 0000000067D8: E0501000 80031D04
	v_add_u32_e32 v4, 64, v4                                   // 0000000067E0: 680808C0
	buffer_load_dword v30, v4, s[12:15], 0 offen               // 0000000067E4: E0501000 80031E04
	v_add_u32_e32 v4, 64, v4                                   // 0000000067EC: 680808C0
	buffer_load_dword v31, v4, s[12:15], 0 offen               // 0000000067F0: E0501000 80031F04
	v_add_u32_e32 v4, 64, v4                                   // 0000000067F8: 680808C0
	buffer_load_dword v32, v4, s[12:15], 0 offen               // 0000000067FC: E0501000 80032004
	v_add_u32_e32 v4, 64, v4                                   // 000000006804: 680808C0
	buffer_load_dword v33, v4, s[12:15], 0 offen               // 000000006808: E0501000 80032104
	v_add_u32_e32 v4, 64, v4                                   // 000000006810: 680808C0
	buffer_load_dword v34, v4, s[12:15], 0 offen               // 000000006814: E0501000 80032204
	v_add_u32_e32 v4, 64, v4                                   // 00000000681C: 680808C0
	buffer_load_dword v35, v4, s[12:15], 0 offen               // 000000006820: E0501000 80032304
	v_add_u32_e32 v4, 64, v4                                   // 000000006828: 680808C0
	buffer_load_dword v36, v4, s[12:15], 0 offen               // 00000000682C: E0501000 80032404
	v_add_u32_e32 v4, 64, v4                                   // 000000006834: 680808C0

0000000000006838 <label_0F8E>:
	v_lshlrev_b32_e32 v4, 2, v0                                // 000000006838: 24080082
	s_mul_i32 s60, 0x100, s7                                   // 00000000683C: 923C07FF 00000100
	v_add_u32_e32 v165, s60, v4                                // 000000006844: 694A083C
	v_and_b32_e32 v4, 15, v0                                   // 000000006848: 2608008F
	v_lshlrev_b32_e32 v166, 2, v4                              // 00000000684C: 254C0882
	s_waitcnt lgkmcnt(0)                                       // 000000006850: BF8CC07F
	s_barrier                                                  // 000000006854: BF8A0000
	v_mov_b32_e32 v156, 0x358637bd                             // 000000006858: 7F3802FF 358637BD
	v_max3_f32 v156, |v84|, |v85|, v156                        // 000000006860: D1D3039C 0672AB54
	v_max3_f32 v156, |v86|, |v87|, v156                        // 000000006868: D1D3039C 0672AF56
	v_max3_f32 v156, |v120|, |v121|, v156                      // 000000006870: D1D3039C 0672F378
	v_max3_f32 v156, |v122|, |v123|, v156                      // 000000006878: D1D3039C 0672F77A
	ds_write_b32 v165, v156                                    // 000000006880: D81A0000 00009CA5
	s_waitcnt lgkmcnt(0)                                       // 000000006888: BF8CC07F
	s_barrier                                                  // 00000000688C: BF8A0000
	ds_read_b32 v4, v166                                       // 000000006890: D86C0000 040000A6
	ds_read_b32 v5, v166 offset:64                             // 000000006898: D86C0040 050000A6
	ds_read_b32 v6, v166 offset:128                            // 0000000068A0: D86C0080 060000A6
	ds_read_b32 v7, v166 offset:192                            // 0000000068A8: D86C00C0 070000A6
	ds_read_b32 v8, v166 offset:256                            // 0000000068B0: D86C0100 080000A6
	ds_read_b32 v9, v166 offset:320                            // 0000000068B8: D86C0140 090000A6
	ds_read_b32 v10, v166 offset:384                           // 0000000068C0: D86C0180 0A0000A6
	ds_read_b32 v11, v166 offset:448                           // 0000000068C8: D86C01C0 0B0000A6
	ds_read_b32 v12, v166 offset:512                           // 0000000068D0: D86C0200 0C0000A6
	ds_read_b32 v13, v166 offset:576                           // 0000000068D8: D86C0240 0D0000A6
	ds_read_b32 v14, v166 offset:640                           // 0000000068E0: D86C0280 0E0000A6
	ds_read_b32 v15, v166 offset:704                           // 0000000068E8: D86C02C0 0F0000A6
	ds_read_b32 v16, v166 offset:768                           // 0000000068F0: D86C0300 100000A6
	ds_read_b32 v17, v166 offset:832                           // 0000000068F8: D86C0340 110000A6
	ds_read_b32 v18, v166 offset:896                           // 000000006900: D86C0380 120000A6
	ds_read_b32 v19, v166 offset:960                           // 000000006908: D86C03C0 130000A6
	s_waitcnt lgkmcnt(0)                                       // 000000006910: BF8CC07F
	s_barrier                                                  // 000000006914: BF8A0000
	v_max3_f32 v156, |v4|, |v5|, v156                          // 000000006918: D1D3039C 06720B04
	v_max3_f32 v156, |v6|, |v7|, v156                          // 000000006920: D1D3039C 06720F06
	v_max3_f32 v156, |v8|, |v9|, v156                          // 000000006928: D1D3039C 06721308
	v_max3_f32 v156, |v10|, |v11|, v156                        // 000000006930: D1D3039C 0672170A
	v_max3_f32 v156, |v12|, |v13|, v156                        // 000000006938: D1D3039C 06721B0C
	v_max3_f32 v156, |v14|, |v15|, v156                        // 000000006940: D1D3039C 06721F0E
	v_max3_f32 v156, |v16|, |v17|, v156                        // 000000006948: D1D3039C 06722310
	v_max3_f32 v156, |v18|, |v19|, v156                        // 000000006950: D1D3039C 06722712
	v_rcp_f32_e32 v156, v156                                   // 000000006958: 7F38459C
	v_mov_b32_e32 v4, 0x43700000                               // 00000000695C: 7E0802FF 43700000
	v_mul_f32_e32 v156, v4, v156                               // 000000006964: 0B393904
	v_mov_b32_e32 v4, v156                                     // 000000006968: 7E08039C
	v_mov_b32_e32 v5, v4                                       // 00000000696C: 7E0A0304
	v_pk_mul_f32 v[84:85], v[4:5], v[84:85]                    // 000000006970: D3B14054 1802A904
	v_pk_mul_f32 v[86:87], v[4:5], v[86:87]                    // 000000006978: D3B14056 1802AD04
	v_cvt_pk_fp8_f32 v84, v84, v85                             // 000000006980: D2A20054 0002AB54
	v_cvt_pk_fp8_f32 v84, v86, v87 op_sel:[0,0,1]              // 000000006988: D2A24054 0002AF56
	v_pk_mul_f32 v[120:121], v[4:5], v[120:121]                // 000000006990: D3B14078 1802F104
	v_pk_mul_f32 v[122:123], v[4:5], v[122:123]                // 000000006998: D3B1407A 1802F504
	v_cvt_pk_fp8_f32 v120, v120, v121                          // 0000000069A0: D2A20078 0002F378
	v_cvt_pk_fp8_f32 v120, v122, v123 op_sel:[0,0,1]           // 0000000069A8: D2A24078 0002F77A
	v_rcp_f32_e32 v156, v156                                   // 0000000069B0: 7F38459C
	v_mov_b32_e32 v157, 0x358637bd                             // 0000000069B4: 7F3A02FF 358637BD
	v_max3_f32 v157, |v88|, |v89|, v157                        // 0000000069BC: D1D3039D 0676B358
	v_max3_f32 v157, |v90|, |v91|, v157                        // 0000000069C4: D1D3039D 0676B75A
	v_max3_f32 v157, |v124|, |v125|, v157                      // 0000000069CC: D1D3039D 0676FB7C
	v_max3_f32 v157, |v126|, |v127|, v157                      // 0000000069D4: D1D3039D 0676FF7E
	ds_write_b32 v165, v157                                    // 0000000069DC: D81A0000 00009DA5
	s_waitcnt lgkmcnt(0)                                       // 0000000069E4: BF8CC07F
	s_barrier                                                  // 0000000069E8: BF8A0000
	ds_read_b32 v4, v166                                       // 0000000069EC: D86C0000 040000A6
	ds_read_b32 v5, v166 offset:64                             // 0000000069F4: D86C0040 050000A6
	ds_read_b32 v6, v166 offset:128                            // 0000000069FC: D86C0080 060000A6
	ds_read_b32 v7, v166 offset:192                            // 000000006A04: D86C00C0 070000A6
	ds_read_b32 v8, v166 offset:256                            // 000000006A0C: D86C0100 080000A6
	ds_read_b32 v9, v166 offset:320                            // 000000006A14: D86C0140 090000A6
	ds_read_b32 v10, v166 offset:384                           // 000000006A1C: D86C0180 0A0000A6
	ds_read_b32 v11, v166 offset:448                           // 000000006A24: D86C01C0 0B0000A6
	ds_read_b32 v12, v166 offset:512                           // 000000006A2C: D86C0200 0C0000A6
	ds_read_b32 v13, v166 offset:576                           // 000000006A34: D86C0240 0D0000A6
	ds_read_b32 v14, v166 offset:640                           // 000000006A3C: D86C0280 0E0000A6
	ds_read_b32 v15, v166 offset:704                           // 000000006A44: D86C02C0 0F0000A6
	ds_read_b32 v16, v166 offset:768                           // 000000006A4C: D86C0300 100000A6
	ds_read_b32 v17, v166 offset:832                           // 000000006A54: D86C0340 110000A6
	ds_read_b32 v18, v166 offset:896                           // 000000006A5C: D86C0380 120000A6
	ds_read_b32 v19, v166 offset:960                           // 000000006A64: D86C03C0 130000A6
	s_waitcnt lgkmcnt(0)                                       // 000000006A6C: BF8CC07F
	s_barrier                                                  // 000000006A70: BF8A0000
	v_max3_f32 v157, |v4|, |v5|, v157                          // 000000006A74: D1D3039D 06760B04
	v_max3_f32 v157, |v6|, |v7|, v157                          // 000000006A7C: D1D3039D 06760F06
	v_max3_f32 v157, |v8|, |v9|, v157                          // 000000006A84: D1D3039D 06761308
	v_max3_f32 v157, |v10|, |v11|, v157                        // 000000006A8C: D1D3039D 0676170A
	v_max3_f32 v157, |v12|, |v13|, v157                        // 000000006A94: D1D3039D 06761B0C
	v_max3_f32 v157, |v14|, |v15|, v157                        // 000000006A9C: D1D3039D 06761F0E
	v_max3_f32 v157, |v16|, |v17|, v157                        // 000000006AA4: D1D3039D 06762310
	v_max3_f32 v157, |v18|, |v19|, v157                        // 000000006AAC: D1D3039D 06762712
	v_rcp_f32_e32 v157, v157                                   // 000000006AB4: 7F3A459D
	v_mov_b32_e32 v4, 0x43700000                               // 000000006AB8: 7E0802FF 43700000
	v_mul_f32_e32 v157, v4, v157                               // 000000006AC0: 0B3B3B04
	v_mov_b32_e32 v4, v157                                     // 000000006AC4: 7E08039D
	v_mov_b32_e32 v5, v4                                       // 000000006AC8: 7E0A0304
	v_pk_mul_f32 v[88:89], v[4:5], v[88:89]                    // 000000006ACC: D3B14058 1802B104
	v_pk_mul_f32 v[90:91], v[4:5], v[90:91]                    // 000000006AD4: D3B1405A 1802B504
	v_cvt_pk_fp8_f32 v88, v88, v89                             // 000000006ADC: D2A20058 0002B358
	v_cvt_pk_fp8_f32 v88, v90, v91 op_sel:[0,0,1]              // 000000006AE4: D2A24058 0002B75A
	v_pk_mul_f32 v[124:125], v[4:5], v[124:125]                // 000000006AEC: D3B1407C 1802F904
	v_pk_mul_f32 v[126:127], v[4:5], v[126:127]                // 000000006AF4: D3B1407E 1802FD04
	v_cvt_pk_fp8_f32 v124, v124, v125                          // 000000006AFC: D2A2007C 0002FB7C
	v_cvt_pk_fp8_f32 v124, v126, v127 op_sel:[0,0,1]           // 000000006B04: D2A2407C 0002FF7E
	v_rcp_f32_e32 v157, v157                                   // 000000006B0C: 7F3A459D
	v_mov_b32_e32 v158, 0x358637bd                             // 000000006B10: 7F3C02FF 358637BD
	v_max3_f32 v158, |v92|, |v93|, v158                        // 000000006B18: D1D3039E 067ABB5C
	v_max3_f32 v158, |v94|, |v95|, v158                        // 000000006B20: D1D3039E 067ABF5E
	v_max3_f32 v158, |v128|, |v129|, v158                      // 000000006B28: D1D3039E 067B0380
	v_max3_f32 v158, |v130|, |v131|, v158                      // 000000006B30: D1D3039E 067B0782
	ds_write_b32 v165, v158                                    // 000000006B38: D81A0000 00009EA5
	s_waitcnt lgkmcnt(0)                                       // 000000006B40: BF8CC07F
	s_barrier                                                  // 000000006B44: BF8A0000
	ds_read_b32 v4, v166                                       // 000000006B48: D86C0000 040000A6
	ds_read_b32 v5, v166 offset:64                             // 000000006B50: D86C0040 050000A6
	ds_read_b32 v6, v166 offset:128                            // 000000006B58: D86C0080 060000A6
	ds_read_b32 v7, v166 offset:192                            // 000000006B60: D86C00C0 070000A6
	ds_read_b32 v8, v166 offset:256                            // 000000006B68: D86C0100 080000A6
	ds_read_b32 v9, v166 offset:320                            // 000000006B70: D86C0140 090000A6
	ds_read_b32 v10, v166 offset:384                           // 000000006B78: D86C0180 0A0000A6
	ds_read_b32 v11, v166 offset:448                           // 000000006B80: D86C01C0 0B0000A6
	ds_read_b32 v12, v166 offset:512                           // 000000006B88: D86C0200 0C0000A6
	ds_read_b32 v13, v166 offset:576                           // 000000006B90: D86C0240 0D0000A6
	ds_read_b32 v14, v166 offset:640                           // 000000006B98: D86C0280 0E0000A6
	ds_read_b32 v15, v166 offset:704                           // 000000006BA0: D86C02C0 0F0000A6
	ds_read_b32 v16, v166 offset:768                           // 000000006BA8: D86C0300 100000A6
	ds_read_b32 v17, v166 offset:832                           // 000000006BB0: D86C0340 110000A6
	ds_read_b32 v18, v166 offset:896                           // 000000006BB8: D86C0380 120000A6
	ds_read_b32 v19, v166 offset:960                           // 000000006BC0: D86C03C0 130000A6
	s_waitcnt lgkmcnt(0)                                       // 000000006BC8: BF8CC07F
	s_barrier                                                  // 000000006BCC: BF8A0000
	v_max3_f32 v158, |v4|, |v5|, v158                          // 000000006BD0: D1D3039E 067A0B04
	v_max3_f32 v158, |v6|, |v7|, v158                          // 000000006BD8: D1D3039E 067A0F06
	v_max3_f32 v158, |v8|, |v9|, v158                          // 000000006BE0: D1D3039E 067A1308
	v_max3_f32 v158, |v10|, |v11|, v158                        // 000000006BE8: D1D3039E 067A170A
	v_max3_f32 v158, |v12|, |v13|, v158                        // 000000006BF0: D1D3039E 067A1B0C
	v_max3_f32 v158, |v14|, |v15|, v158                        // 000000006BF8: D1D3039E 067A1F0E
	v_max3_f32 v158, |v16|, |v17|, v158                        // 000000006C00: D1D3039E 067A2310
	v_max3_f32 v158, |v18|, |v19|, v158                        // 000000006C08: D1D3039E 067A2712
	v_rcp_f32_e32 v158, v158                                   // 000000006C10: 7F3C459E
	v_mov_b32_e32 v4, 0x43700000                               // 000000006C14: 7E0802FF 43700000
	v_mul_f32_e32 v158, v4, v158                               // 000000006C1C: 0B3D3D04
	v_mov_b32_e32 v4, v158                                     // 000000006C20: 7E08039E
	v_mov_b32_e32 v5, v4                                       // 000000006C24: 7E0A0304
	v_pk_mul_f32 v[92:93], v[4:5], v[92:93]                    // 000000006C28: D3B1405C 1802B904
	v_pk_mul_f32 v[94:95], v[4:5], v[94:95]                    // 000000006C30: D3B1405E 1802BD04
	v_cvt_pk_fp8_f32 v92, v92, v93                             // 000000006C38: D2A2005C 0002BB5C
	v_cvt_pk_fp8_f32 v92, v94, v95 op_sel:[0,0,1]              // 000000006C40: D2A2405C 0002BF5E
	v_pk_mul_f32 v[128:129], v[4:5], v[128:129]                // 000000006C48: D3B14080 18030104
	v_pk_mul_f32 v[130:131], v[4:5], v[130:131]                // 000000006C50: D3B14082 18030504
	v_cvt_pk_fp8_f32 v128, v128, v129                          // 000000006C58: D2A20080 00030380
	v_cvt_pk_fp8_f32 v128, v130, v131 op_sel:[0,0,1]           // 000000006C60: D2A24080 00030782
	v_rcp_f32_e32 v158, v158                                   // 000000006C68: 7F3C459E
	v_mov_b32_e32 v159, 0x358637bd                             // 000000006C6C: 7F3E02FF 358637BD
	v_max3_f32 v159, |v96|, |v97|, v159                        // 000000006C74: D1D3039F 067EC360
	v_max3_f32 v159, |v98|, |v99|, v159                        // 000000006C7C: D1D3039F 067EC762
	v_max3_f32 v159, |v132|, |v133|, v159                      // 000000006C84: D1D3039F 067F0B84
	v_max3_f32 v159, |v134|, |v135|, v159                      // 000000006C8C: D1D3039F 067F0F86
	ds_write_b32 v165, v159                                    // 000000006C94: D81A0000 00009FA5
	s_waitcnt lgkmcnt(0)                                       // 000000006C9C: BF8CC07F
	s_barrier                                                  // 000000006CA0: BF8A0000
	ds_read_b32 v4, v166                                       // 000000006CA4: D86C0000 040000A6
	ds_read_b32 v5, v166 offset:64                             // 000000006CAC: D86C0040 050000A6
	ds_read_b32 v6, v166 offset:128                            // 000000006CB4: D86C0080 060000A6
	ds_read_b32 v7, v166 offset:192                            // 000000006CBC: D86C00C0 070000A6
	ds_read_b32 v8, v166 offset:256                            // 000000006CC4: D86C0100 080000A6
	ds_read_b32 v9, v166 offset:320                            // 000000006CCC: D86C0140 090000A6
	ds_read_b32 v10, v166 offset:384                           // 000000006CD4: D86C0180 0A0000A6
	ds_read_b32 v11, v166 offset:448                           // 000000006CDC: D86C01C0 0B0000A6
	ds_read_b32 v12, v166 offset:512                           // 000000006CE4: D86C0200 0C0000A6
	ds_read_b32 v13, v166 offset:576                           // 000000006CEC: D86C0240 0D0000A6
	ds_read_b32 v14, v166 offset:640                           // 000000006CF4: D86C0280 0E0000A6
	ds_read_b32 v15, v166 offset:704                           // 000000006CFC: D86C02C0 0F0000A6
	ds_read_b32 v16, v166 offset:768                           // 000000006D04: D86C0300 100000A6
	ds_read_b32 v17, v166 offset:832                           // 000000006D0C: D86C0340 110000A6
	ds_read_b32 v18, v166 offset:896                           // 000000006D14: D86C0380 120000A6
	ds_read_b32 v19, v166 offset:960                           // 000000006D1C: D86C03C0 130000A6
	s_waitcnt lgkmcnt(0)                                       // 000000006D24: BF8CC07F
	s_barrier                                                  // 000000006D28: BF8A0000
	v_max3_f32 v159, |v4|, |v5|, v159                          // 000000006D2C: D1D3039F 067E0B04
	v_max3_f32 v159, |v6|, |v7|, v159                          // 000000006D34: D1D3039F 067E0F06
	v_max3_f32 v159, |v8|, |v9|, v159                          // 000000006D3C: D1D3039F 067E1308
	v_max3_f32 v159, |v10|, |v11|, v159                        // 000000006D44: D1D3039F 067E170A
	v_max3_f32 v159, |v12|, |v13|, v159                        // 000000006D4C: D1D3039F 067E1B0C
	v_max3_f32 v159, |v14|, |v15|, v159                        // 000000006D54: D1D3039F 067E1F0E
	v_max3_f32 v159, |v16|, |v17|, v159                        // 000000006D5C: D1D3039F 067E2310
	v_max3_f32 v159, |v18|, |v19|, v159                        // 000000006D64: D1D3039F 067E2712
	v_rcp_f32_e32 v159, v159                                   // 000000006D6C: 7F3E459F
	v_mov_b32_e32 v4, 0x43700000                               // 000000006D70: 7E0802FF 43700000
	v_mul_f32_e32 v159, v4, v159                               // 000000006D78: 0B3F3F04
	v_mov_b32_e32 v4, v159                                     // 000000006D7C: 7E08039F
	v_mov_b32_e32 v5, v4                                       // 000000006D80: 7E0A0304
	v_pk_mul_f32 v[96:97], v[4:5], v[96:97]                    // 000000006D84: D3B14060 1802C104
	v_pk_mul_f32 v[98:99], v[4:5], v[98:99]                    // 000000006D8C: D3B14062 1802C504
	v_cvt_pk_fp8_f32 v96, v96, v97                             // 000000006D94: D2A20060 0002C360
	v_cvt_pk_fp8_f32 v96, v98, v99 op_sel:[0,0,1]              // 000000006D9C: D2A24060 0002C762
	v_pk_mul_f32 v[132:133], v[4:5], v[132:133]                // 000000006DA4: D3B14084 18030904
	v_pk_mul_f32 v[134:135], v[4:5], v[134:135]                // 000000006DAC: D3B14086 18030D04
	v_cvt_pk_fp8_f32 v132, v132, v133                          // 000000006DB4: D2A20084 00030B84
	v_cvt_pk_fp8_f32 v132, v134, v135 op_sel:[0,0,1]           // 000000006DBC: D2A24084 00030F86
	v_rcp_f32_e32 v159, v159                                   // 000000006DC4: 7F3E459F
	v_mov_b32_e32 v160, 0x358637bd                             // 000000006DC8: 7F4002FF 358637BD
	v_max3_f32 v160, |v100|, |v101|, v160                      // 000000006DD0: D1D303A0 0682CB64
	v_max3_f32 v160, |v102|, |v103|, v160                      // 000000006DD8: D1D303A0 0682CF66
	v_max3_f32 v160, |v136|, |v137|, v160                      // 000000006DE0: D1D303A0 06831388
	v_max3_f32 v160, |v138|, |v139|, v160                      // 000000006DE8: D1D303A0 0683178A
	ds_write_b32 v165, v160                                    // 000000006DF0: D81A0000 0000A0A5
	s_waitcnt lgkmcnt(0)                                       // 000000006DF8: BF8CC07F
	s_barrier                                                  // 000000006DFC: BF8A0000
	ds_read_b32 v4, v166                                       // 000000006E00: D86C0000 040000A6
	ds_read_b32 v5, v166 offset:64                             // 000000006E08: D86C0040 050000A6
	ds_read_b32 v6, v166 offset:128                            // 000000006E10: D86C0080 060000A6
	ds_read_b32 v7, v166 offset:192                            // 000000006E18: D86C00C0 070000A6
	ds_read_b32 v8, v166 offset:256                            // 000000006E20: D86C0100 080000A6
	ds_read_b32 v9, v166 offset:320                            // 000000006E28: D86C0140 090000A6
	ds_read_b32 v10, v166 offset:384                           // 000000006E30: D86C0180 0A0000A6
	ds_read_b32 v11, v166 offset:448                           // 000000006E38: D86C01C0 0B0000A6
	ds_read_b32 v12, v166 offset:512                           // 000000006E40: D86C0200 0C0000A6
	ds_read_b32 v13, v166 offset:576                           // 000000006E48: D86C0240 0D0000A6
	ds_read_b32 v14, v166 offset:640                           // 000000006E50: D86C0280 0E0000A6
	ds_read_b32 v15, v166 offset:704                           // 000000006E58: D86C02C0 0F0000A6
	ds_read_b32 v16, v166 offset:768                           // 000000006E60: D86C0300 100000A6
	ds_read_b32 v17, v166 offset:832                           // 000000006E68: D86C0340 110000A6
	ds_read_b32 v18, v166 offset:896                           // 000000006E70: D86C0380 120000A6
	ds_read_b32 v19, v166 offset:960                           // 000000006E78: D86C03C0 130000A6
	s_waitcnt lgkmcnt(0)                                       // 000000006E80: BF8CC07F
	s_barrier                                                  // 000000006E84: BF8A0000
	v_max3_f32 v160, |v4|, |v5|, v160                          // 000000006E88: D1D303A0 06820B04
	v_max3_f32 v160, |v6|, |v7|, v160                          // 000000006E90: D1D303A0 06820F06
	v_max3_f32 v160, |v8|, |v9|, v160                          // 000000006E98: D1D303A0 06821308
	v_max3_f32 v160, |v10|, |v11|, v160                        // 000000006EA0: D1D303A0 0682170A
	v_max3_f32 v160, |v12|, |v13|, v160                        // 000000006EA8: D1D303A0 06821B0C
	v_max3_f32 v160, |v14|, |v15|, v160                        // 000000006EB0: D1D303A0 06821F0E
	v_max3_f32 v160, |v16|, |v17|, v160                        // 000000006EB8: D1D303A0 06822310
	v_max3_f32 v160, |v18|, |v19|, v160                        // 000000006EC0: D1D303A0 06822712
	v_rcp_f32_e32 v160, v160                                   // 000000006EC8: 7F4045A0
	v_mov_b32_e32 v4, 0x43700000                               // 000000006ECC: 7E0802FF 43700000
	v_mul_f32_e32 v160, v4, v160                               // 000000006ED4: 0B414104
	v_mov_b32_e32 v4, v160                                     // 000000006ED8: 7E0803A0
	v_mov_b32_e32 v5, v4                                       // 000000006EDC: 7E0A0304
	v_pk_mul_f32 v[100:101], v[4:5], v[100:101]                // 000000006EE0: D3B14064 1802C904
	v_pk_mul_f32 v[102:103], v[4:5], v[102:103]                // 000000006EE8: D3B14066 1802CD04
	v_cvt_pk_fp8_f32 v100, v100, v101                          // 000000006EF0: D2A20064 0002CB64
	v_cvt_pk_fp8_f32 v100, v102, v103 op_sel:[0,0,1]           // 000000006EF8: D2A24064 0002CF66
	v_pk_mul_f32 v[136:137], v[4:5], v[136:137]                // 000000006F00: D3B14088 18031104
	v_pk_mul_f32 v[138:139], v[4:5], v[138:139]                // 000000006F08: D3B1408A 18031504
	v_cvt_pk_fp8_f32 v136, v136, v137                          // 000000006F10: D2A20088 00031388
	v_cvt_pk_fp8_f32 v136, v138, v139 op_sel:[0,0,1]           // 000000006F18: D2A24088 0003178A
	v_rcp_f32_e32 v160, v160                                   // 000000006F20: 7F4045A0
	v_mov_b32_e32 v161, 0x358637bd                             // 000000006F24: 7F4202FF 358637BD
	v_max3_f32 v161, |v104|, |v105|, v161                      // 000000006F2C: D1D303A1 0686D368
	v_max3_f32 v161, |v106|, |v107|, v161                      // 000000006F34: D1D303A1 0686D76A
	v_max3_f32 v161, |v140|, |v141|, v161                      // 000000006F3C: D1D303A1 06871B8C
	v_max3_f32 v161, |v142|, |v143|, v161                      // 000000006F44: D1D303A1 06871F8E
	ds_write_b32 v165, v161                                    // 000000006F4C: D81A0000 0000A1A5
	s_waitcnt lgkmcnt(0)                                       // 000000006F54: BF8CC07F
	s_barrier                                                  // 000000006F58: BF8A0000
	ds_read_b32 v4, v166                                       // 000000006F5C: D86C0000 040000A6
	ds_read_b32 v5, v166 offset:64                             // 000000006F64: D86C0040 050000A6
	ds_read_b32 v6, v166 offset:128                            // 000000006F6C: D86C0080 060000A6
	ds_read_b32 v7, v166 offset:192                            // 000000006F74: D86C00C0 070000A6
	ds_read_b32 v8, v166 offset:256                            // 000000006F7C: D86C0100 080000A6
	ds_read_b32 v9, v166 offset:320                            // 000000006F84: D86C0140 090000A6
	ds_read_b32 v10, v166 offset:384                           // 000000006F8C: D86C0180 0A0000A6
	ds_read_b32 v11, v166 offset:448                           // 000000006F94: D86C01C0 0B0000A6
	ds_read_b32 v12, v166 offset:512                           // 000000006F9C: D86C0200 0C0000A6
	ds_read_b32 v13, v166 offset:576                           // 000000006FA4: D86C0240 0D0000A6
	ds_read_b32 v14, v166 offset:640                           // 000000006FAC: D86C0280 0E0000A6
	ds_read_b32 v15, v166 offset:704                           // 000000006FB4: D86C02C0 0F0000A6
	ds_read_b32 v16, v166 offset:768                           // 000000006FBC: D86C0300 100000A6
	ds_read_b32 v17, v166 offset:832                           // 000000006FC4: D86C0340 110000A6
	ds_read_b32 v18, v166 offset:896                           // 000000006FCC: D86C0380 120000A6
	ds_read_b32 v19, v166 offset:960                           // 000000006FD4: D86C03C0 130000A6
	s_waitcnt lgkmcnt(0)                                       // 000000006FDC: BF8CC07F
	s_barrier                                                  // 000000006FE0: BF8A0000
	v_max3_f32 v161, |v4|, |v5|, v161                          // 000000006FE4: D1D303A1 06860B04
	v_max3_f32 v161, |v6|, |v7|, v161                          // 000000006FEC: D1D303A1 06860F06
	v_max3_f32 v161, |v8|, |v9|, v161                          // 000000006FF4: D1D303A1 06861308
	v_max3_f32 v161, |v10|, |v11|, v161                        // 000000006FFC: D1D303A1 0686170A
	v_max3_f32 v161, |v12|, |v13|, v161                        // 000000007004: D1D303A1 06861B0C
	v_max3_f32 v161, |v14|, |v15|, v161                        // 00000000700C: D1D303A1 06861F0E
	v_max3_f32 v161, |v16|, |v17|, v161                        // 000000007014: D1D303A1 06862310
	v_max3_f32 v161, |v18|, |v19|, v161                        // 00000000701C: D1D303A1 06862712
	v_rcp_f32_e32 v161, v161                                   // 000000007024: 7F4245A1
	v_mov_b32_e32 v4, 0x43700000                               // 000000007028: 7E0802FF 43700000
	v_mul_f32_e32 v161, v4, v161                               // 000000007030: 0B434304
	v_mov_b32_e32 v4, v161                                     // 000000007034: 7E0803A1
	v_mov_b32_e32 v5, v4                                       // 000000007038: 7E0A0304
	v_pk_mul_f32 v[104:105], v[4:5], v[104:105]                // 00000000703C: D3B14068 1802D104
	v_pk_mul_f32 v[106:107], v[4:5], v[106:107]                // 000000007044: D3B1406A 1802D504
	v_cvt_pk_fp8_f32 v104, v104, v105                          // 00000000704C: D2A20068 0002D368
	v_cvt_pk_fp8_f32 v104, v106, v107 op_sel:[0,0,1]           // 000000007054: D2A24068 0002D76A
	v_pk_mul_f32 v[140:141], v[4:5], v[140:141]                // 00000000705C: D3B1408C 18031904
	v_pk_mul_f32 v[142:143], v[4:5], v[142:143]                // 000000007064: D3B1408E 18031D04
	v_cvt_pk_fp8_f32 v140, v140, v141                          // 00000000706C: D2A2008C 00031B8C
	v_cvt_pk_fp8_f32 v140, v142, v143 op_sel:[0,0,1]           // 000000007074: D2A2408C 00031F8E
	v_rcp_f32_e32 v161, v161                                   // 00000000707C: 7F4245A1
	v_mov_b32_e32 v162, 0x358637bd                             // 000000007080: 7F4402FF 358637BD
	v_max3_f32 v162, |v108|, |v109|, v162                      // 000000007088: D1D303A2 068ADB6C
	v_max3_f32 v162, |v110|, |v111|, v162                      // 000000007090: D1D303A2 068ADF6E
	v_max3_f32 v162, |v144|, |v145|, v162                      // 000000007098: D1D303A2 068B2390
	v_max3_f32 v162, |v146|, |v147|, v162                      // 0000000070A0: D1D303A2 068B2792
	ds_write_b32 v165, v162                                    // 0000000070A8: D81A0000 0000A2A5
	s_waitcnt lgkmcnt(0)                                       // 0000000070B0: BF8CC07F
	s_barrier                                                  // 0000000070B4: BF8A0000
	ds_read_b32 v4, v166                                       // 0000000070B8: D86C0000 040000A6
	ds_read_b32 v5, v166 offset:64                             // 0000000070C0: D86C0040 050000A6
	ds_read_b32 v6, v166 offset:128                            // 0000000070C8: D86C0080 060000A6
	ds_read_b32 v7, v166 offset:192                            // 0000000070D0: D86C00C0 070000A6
	ds_read_b32 v8, v166 offset:256                            // 0000000070D8: D86C0100 080000A6
	ds_read_b32 v9, v166 offset:320                            // 0000000070E0: D86C0140 090000A6
	ds_read_b32 v10, v166 offset:384                           // 0000000070E8: D86C0180 0A0000A6
	ds_read_b32 v11, v166 offset:448                           // 0000000070F0: D86C01C0 0B0000A6
	ds_read_b32 v12, v166 offset:512                           // 0000000070F8: D86C0200 0C0000A6
	ds_read_b32 v13, v166 offset:576                           // 000000007100: D86C0240 0D0000A6
	ds_read_b32 v14, v166 offset:640                           // 000000007108: D86C0280 0E0000A6
	ds_read_b32 v15, v166 offset:704                           // 000000007110: D86C02C0 0F0000A6
	ds_read_b32 v16, v166 offset:768                           // 000000007118: D86C0300 100000A6
	ds_read_b32 v17, v166 offset:832                           // 000000007120: D86C0340 110000A6
	ds_read_b32 v18, v166 offset:896                           // 000000007128: D86C0380 120000A6
	ds_read_b32 v19, v166 offset:960                           // 000000007130: D86C03C0 130000A6
	s_waitcnt lgkmcnt(0)                                       // 000000007138: BF8CC07F
	s_barrier                                                  // 00000000713C: BF8A0000
	v_max3_f32 v162, |v4|, |v5|, v162                          // 000000007140: D1D303A2 068A0B04
	v_max3_f32 v162, |v6|, |v7|, v162                          // 000000007148: D1D303A2 068A0F06
	v_max3_f32 v162, |v8|, |v9|, v162                          // 000000007150: D1D303A2 068A1308
	v_max3_f32 v162, |v10|, |v11|, v162                        // 000000007158: D1D303A2 068A170A
	v_max3_f32 v162, |v12|, |v13|, v162                        // 000000007160: D1D303A2 068A1B0C
	v_max3_f32 v162, |v14|, |v15|, v162                        // 000000007168: D1D303A2 068A1F0E
	v_max3_f32 v162, |v16|, |v17|, v162                        // 000000007170: D1D303A2 068A2310
	v_max3_f32 v162, |v18|, |v19|, v162                        // 000000007178: D1D303A2 068A2712
	v_rcp_f32_e32 v162, v162                                   // 000000007180: 7F4445A2
	v_mov_b32_e32 v4, 0x43700000                               // 000000007184: 7E0802FF 43700000
	v_mul_f32_e32 v162, v4, v162                               // 00000000718C: 0B454504
	v_mov_b32_e32 v4, v162                                     // 000000007190: 7E0803A2
	v_mov_b32_e32 v5, v4                                       // 000000007194: 7E0A0304
	v_pk_mul_f32 v[108:109], v[4:5], v[108:109]                // 000000007198: D3B1406C 1802D904
	v_pk_mul_f32 v[110:111], v[4:5], v[110:111]                // 0000000071A0: D3B1406E 1802DD04
	v_cvt_pk_fp8_f32 v108, v108, v109                          // 0000000071A8: D2A2006C 0002DB6C
	v_cvt_pk_fp8_f32 v108, v110, v111 op_sel:[0,0,1]           // 0000000071B0: D2A2406C 0002DF6E
	v_pk_mul_f32 v[144:145], v[4:5], v[144:145]                // 0000000071B8: D3B14090 18032104
	v_pk_mul_f32 v[146:147], v[4:5], v[146:147]                // 0000000071C0: D3B14092 18032504
	v_cvt_pk_fp8_f32 v144, v144, v145                          // 0000000071C8: D2A20090 00032390
	v_cvt_pk_fp8_f32 v144, v146, v147 op_sel:[0,0,1]           // 0000000071D0: D2A24090 00032792
	v_rcp_f32_e32 v162, v162                                   // 0000000071D8: 7F4445A2
	v_mov_b32_e32 v163, 0x358637bd                             // 0000000071DC: 7F4602FF 358637BD
	v_max3_f32 v163, |v112|, |v113|, v163                      // 0000000071E4: D1D303A3 068EE370
	v_max3_f32 v163, |v114|, |v115|, v163                      // 0000000071EC: D1D303A3 068EE772
	v_max3_f32 v163, |v148|, |v149|, v163                      // 0000000071F4: D1D303A3 068F2B94
	v_max3_f32 v163, |v150|, |v151|, v163                      // 0000000071FC: D1D303A3 068F2F96
	ds_write_b32 v165, v163                                    // 000000007204: D81A0000 0000A3A5
	s_waitcnt lgkmcnt(0)                                       // 00000000720C: BF8CC07F
	s_barrier                                                  // 000000007210: BF8A0000
	ds_read_b32 v4, v166                                       // 000000007214: D86C0000 040000A6
	ds_read_b32 v5, v166 offset:64                             // 00000000721C: D86C0040 050000A6
	ds_read_b32 v6, v166 offset:128                            // 000000007224: D86C0080 060000A6
	ds_read_b32 v7, v166 offset:192                            // 00000000722C: D86C00C0 070000A6
	ds_read_b32 v8, v166 offset:256                            // 000000007234: D86C0100 080000A6
	ds_read_b32 v9, v166 offset:320                            // 00000000723C: D86C0140 090000A6
	ds_read_b32 v10, v166 offset:384                           // 000000007244: D86C0180 0A0000A6
	ds_read_b32 v11, v166 offset:448                           // 00000000724C: D86C01C0 0B0000A6
	ds_read_b32 v12, v166 offset:512                           // 000000007254: D86C0200 0C0000A6
	ds_read_b32 v13, v166 offset:576                           // 00000000725C: D86C0240 0D0000A6
	ds_read_b32 v14, v166 offset:640                           // 000000007264: D86C0280 0E0000A6
	ds_read_b32 v15, v166 offset:704                           // 00000000726C: D86C02C0 0F0000A6
	ds_read_b32 v16, v166 offset:768                           // 000000007274: D86C0300 100000A6
	ds_read_b32 v17, v166 offset:832                           // 00000000727C: D86C0340 110000A6
	ds_read_b32 v18, v166 offset:896                           // 000000007284: D86C0380 120000A6
	ds_read_b32 v19, v166 offset:960                           // 00000000728C: D86C03C0 130000A6
	s_waitcnt lgkmcnt(0)                                       // 000000007294: BF8CC07F
	s_barrier                                                  // 000000007298: BF8A0000
	v_max3_f32 v163, |v4|, |v5|, v163                          // 00000000729C: D1D303A3 068E0B04
	v_max3_f32 v163, |v6|, |v7|, v163                          // 0000000072A4: D1D303A3 068E0F06
	v_max3_f32 v163, |v8|, |v9|, v163                          // 0000000072AC: D1D303A3 068E1308
	v_max3_f32 v163, |v10|, |v11|, v163                        // 0000000072B4: D1D303A3 068E170A
	v_max3_f32 v163, |v12|, |v13|, v163                        // 0000000072BC: D1D303A3 068E1B0C
	v_max3_f32 v163, |v14|, |v15|, v163                        // 0000000072C4: D1D303A3 068E1F0E
	v_max3_f32 v163, |v16|, |v17|, v163                        // 0000000072CC: D1D303A3 068E2310
	v_max3_f32 v163, |v18|, |v19|, v163                        // 0000000072D4: D1D303A3 068E2712
	v_rcp_f32_e32 v163, v163                                   // 0000000072DC: 7F4645A3
	v_mov_b32_e32 v4, 0x43700000                               // 0000000072E0: 7E0802FF 43700000
	v_mul_f32_e32 v163, v4, v163                               // 0000000072E8: 0B474704
	v_mov_b32_e32 v4, v163                                     // 0000000072EC: 7E0803A3
	v_mov_b32_e32 v5, v4                                       // 0000000072F0: 7E0A0304
	v_pk_mul_f32 v[112:113], v[4:5], v[112:113]                // 0000000072F4: D3B14070 1802E104
	v_pk_mul_f32 v[114:115], v[4:5], v[114:115]                // 0000000072FC: D3B14072 1802E504
	v_cvt_pk_fp8_f32 v112, v112, v113                          // 000000007304: D2A20070 0002E370
	v_cvt_pk_fp8_f32 v112, v114, v115 op_sel:[0,0,1]           // 00000000730C: D2A24070 0002E772
	v_pk_mul_f32 v[148:149], v[4:5], v[148:149]                // 000000007314: D3B14094 18032904
	v_pk_mul_f32 v[150:151], v[4:5], v[150:151]                // 00000000731C: D3B14096 18032D04
	v_cvt_pk_fp8_f32 v148, v148, v149                          // 000000007324: D2A20094 00032B94
	v_cvt_pk_fp8_f32 v148, v150, v151 op_sel:[0,0,1]           // 00000000732C: D2A24094 00032F96
	v_rcp_f32_e32 v163, v163                                   // 000000007334: 7F4645A3
	v_mov_b32_e32 v164, 0x358637bd                             // 000000007338: 7F4802FF 358637BD
	v_max3_f32 v164, |v116|, |v117|, v164                      // 000000007340: D1D303A4 0692EB74
	v_max3_f32 v164, |v118|, |v119|, v164                      // 000000007348: D1D303A4 0692EF76
	v_max3_f32 v164, |v152|, |v153|, v164                      // 000000007350: D1D303A4 06933398
	v_max3_f32 v164, |v154|, |v155|, v164                      // 000000007358: D1D303A4 0693379A
	ds_write_b32 v165, v164                                    // 000000007360: D81A0000 0000A4A5
	s_waitcnt lgkmcnt(0)                                       // 000000007368: BF8CC07F
	s_barrier                                                  // 00000000736C: BF8A0000
	ds_read_b32 v4, v166                                       // 000000007370: D86C0000 040000A6
	ds_read_b32 v5, v166 offset:64                             // 000000007378: D86C0040 050000A6
	ds_read_b32 v6, v166 offset:128                            // 000000007380: D86C0080 060000A6
	ds_read_b32 v7, v166 offset:192                            // 000000007388: D86C00C0 070000A6
	ds_read_b32 v8, v166 offset:256                            // 000000007390: D86C0100 080000A6
	ds_read_b32 v9, v166 offset:320                            // 000000007398: D86C0140 090000A6
	ds_read_b32 v10, v166 offset:384                           // 0000000073A0: D86C0180 0A0000A6
	ds_read_b32 v11, v166 offset:448                           // 0000000073A8: D86C01C0 0B0000A6
	ds_read_b32 v12, v166 offset:512                           // 0000000073B0: D86C0200 0C0000A6
	ds_read_b32 v13, v166 offset:576                           // 0000000073B8: D86C0240 0D0000A6
	ds_read_b32 v14, v166 offset:640                           // 0000000073C0: D86C0280 0E0000A6
	ds_read_b32 v15, v166 offset:704                           // 0000000073C8: D86C02C0 0F0000A6
	ds_read_b32 v16, v166 offset:768                           // 0000000073D0: D86C0300 100000A6
	ds_read_b32 v17, v166 offset:832                           // 0000000073D8: D86C0340 110000A6
	ds_read_b32 v18, v166 offset:896                           // 0000000073E0: D86C0380 120000A6
	ds_read_b32 v19, v166 offset:960                           // 0000000073E8: D86C03C0 130000A6
	s_waitcnt lgkmcnt(0)                                       // 0000000073F0: BF8CC07F
	s_barrier                                                  // 0000000073F4: BF8A0000
	v_max3_f32 v164, |v4|, |v5|, v164                          // 0000000073F8: D1D303A4 06920B04
	v_max3_f32 v164, |v6|, |v7|, v164                          // 000000007400: D1D303A4 06920F06
	v_max3_f32 v164, |v8|, |v9|, v164                          // 000000007408: D1D303A4 06921308
	v_max3_f32 v164, |v10|, |v11|, v164                        // 000000007410: D1D303A4 0692170A
	v_max3_f32 v164, |v12|, |v13|, v164                        // 000000007418: D1D303A4 06921B0C
	v_max3_f32 v164, |v14|, |v15|, v164                        // 000000007420: D1D303A4 06921F0E
	v_max3_f32 v164, |v16|, |v17|, v164                        // 000000007428: D1D303A4 06922310
	v_max3_f32 v164, |v18|, |v19|, v164                        // 000000007430: D1D303A4 06922712
	v_rcp_f32_e32 v164, v164                                   // 000000007438: 7F4845A4
	v_mov_b32_e32 v4, 0x43700000                               // 00000000743C: 7E0802FF 43700000
	v_mul_f32_e32 v164, v4, v164                               // 000000007444: 0B494904
	v_mov_b32_e32 v4, v164                                     // 000000007448: 7E0803A4
	v_mov_b32_e32 v5, v4                                       // 00000000744C: 7E0A0304
	v_pk_mul_f32 v[116:117], v[4:5], v[116:117]                // 000000007450: D3B14074 1802E904
	v_pk_mul_f32 v[118:119], v[4:5], v[118:119]                // 000000007458: D3B14076 1802ED04
	v_cvt_pk_fp8_f32 v116, v116, v117                          // 000000007460: D2A20074 0002EB74
	v_cvt_pk_fp8_f32 v116, v118, v119 op_sel:[0,0,1]           // 000000007468: D2A24074 0002EF76
	v_pk_mul_f32 v[152:153], v[4:5], v[152:153]                // 000000007470: D3B14098 18033104
	v_pk_mul_f32 v[154:155], v[4:5], v[154:155]                // 000000007478: D3B1409A 18033504
	v_cvt_pk_fp8_f32 v152, v152, v153                          // 000000007480: D2A20098 00033398
	v_cvt_pk_fp8_f32 v152, v154, v155 op_sel:[0,0,1]           // 000000007488: D2A24098 0003379A
	v_rcp_f32_e32 v164, v164                                   // 000000007490: 7F4845A4
	v_lshrrev_b32_e32 v4, 5, v0                                // 000000007494: 20080085
	v_mul_lo_u32 v20, 34, v4                                   // 000000007498: D2850014 000208A2
	v_and_b32_e32 v4, 31, v0                                   // 0000000074A0: 2608009F
	v_lshrrev_b32_e32 v5, 4, v4                                // 0000000074A4: 200A0884
	v_add_u32_e32 v20, v5, v20                                 // 0000000074A8: 68282905
	v_and_b32_e32 v4, 15, v0                                   // 0000000074AC: 2608008F
	v_mul_lo_u32 v5, 2, v4                                     // 0000000074B0: D2850005 00020882
	v_add_u32_e32 v20, v5, v20                                 // 0000000074B8: 68282905
	s_mul_i32 s60, s7, 0x44                                    // 0000000074BC: 923CFF07 00000044
	v_add_u32_e32 v20, s60, v20                                // 0000000074C4: 6828283C
	v_lshlrev_b32_e32 v20, 2, v20                              // 0000000074C8: 24282882
	ds_write_b32 v20, v84                                      // 0000000074CC: D81A0000 00005414
	ds_write_b32 v20, v88 offset:2176                          // 0000000074D4: D81A0880 00005814
	ds_write_b32 v20, v92 offset:4352                          // 0000000074DC: D81A1100 00005C14
	ds_write_b32 v20, v96 offset:6528                          // 0000000074E4: D81A1980 00006014
	ds_write_b32 v20, v100 offset:8704                         // 0000000074EC: D81A2200 00006414
	ds_write_b32 v20, v104 offset:10880                        // 0000000074F4: D81A2A80 00006814
	ds_write_b32 v20, v108 offset:13056                        // 0000000074FC: D81A3300 00006C14
	ds_write_b32 v20, v112 offset:15232                        // 000000007504: D81A3B80 00007014
	ds_write_b32 v20, v116 offset:17408                        // 00000000750C: D81A4400 00007414
	ds_write_b32 v20, v120 offset:1088                         // 000000007514: D81A0440 00007814
	ds_write_b32 v20, v124 offset:3264                         // 00000000751C: D81A0CC0 00007C14
	ds_write_b32 v20, v128 offset:5440                         // 000000007524: D81A1540 00008014
	ds_write_b32 v20, v132 offset:7616                         // 00000000752C: D81A1DC0 00008414
	ds_write_b32 v20, v136 offset:9792                         // 000000007534: D81A2640 00008814
	ds_write_b32 v20, v140 offset:11968                        // 00000000753C: D81A2EC0 00008C14
	ds_write_b32 v20, v144 offset:14144                        // 000000007544: D81A3740 00009014
	ds_write_b32 v20, v148 offset:16320                        // 00000000754C: D81A3FC0 00009414
	ds_write_b32 v20, v152 offset:18496                        // 000000007554: D81A4840 00009814
	v_lshrrev_b32_e32 v4, 5, v0                                // 00000000755C: 20080085
	v_xor_b32_e32 v5, 1, v4                                    // 000000007560: 2A0A0881
	s_mul_i32 s60, s65, 1                                      // 000000007564: 923C8141
	s_cmp_eq_u32 s88, 0                                        // 000000007568: BF068058
	s_cselect_b32 s61, 1, 8                                    // 00000000756C: 853D8881
	s_mul_i32 s60, s61, s60                                    // 000000007570: 923C3C3D
	v_readlane_b32 s82, v3, 0                                  // 000000007574: D2890052 00010103
	s_lshr_b32 s61, s82, 24                                    // 00000000757C: 8F3D9852
	s_and_b32 s82, s82, 0xffffff                               // 000000007580: 8652FF52 00FFFFFF
	s_mul_i32 s82, s82, s71                                    // 000000007588: 92524752
	s_mul_i32 s61, s60, s61                                    // 00000000758C: 923D3D3C
	s_add_u32 s82, s82, s61                                    // 000000007590: 80523D52
	v_mul_lo_u32 v6, v5, s82                                   // 000000007594: D2850006 0000A505
	v_readlane_b32 s82, v3, 1                                  // 00000000759C: D2890052 00010303
	s_lshr_b32 s61, s82, 24                                    // 0000000075A4: 8F3D9852
	s_and_b32 s82, s82, 0xffffff                               // 0000000075A8: 8652FF52 00FFFFFF
	s_mul_i32 s82, s82, s71                                    // 0000000075B0: 92524752
	s_mul_i32 s61, s60, s61                                    // 0000000075B4: 923D3D3C
	s_add_u32 s82, s82, s61                                    // 0000000075B8: 80523D52
	v_mul_lo_u32 v7, v4, s82                                   // 0000000075BC: D2850007 0000A504
	v_add_u32_e32 v64, v6, v7                                  // 0000000075C4: 68800F06
	v_readlane_b32 s82, v3, 2                                  // 0000000075C8: D2890052 00010503
	s_lshr_b32 s61, s82, 24                                    // 0000000075D0: 8F3D9852
	s_and_b32 s82, s82, 0xffffff                               // 0000000075D4: 8652FF52 00FFFFFF
	s_mul_i32 s82, s82, s71                                    // 0000000075DC: 92524752
	s_mul_i32 s61, s60, s61                                    // 0000000075E0: 923D3D3C
	s_add_u32 s82, s82, s61                                    // 0000000075E4: 80523D52
	v_mul_lo_u32 v6, v5, s82                                   // 0000000075E8: D2850006 0000A505
	v_readlane_b32 s82, v3, 3                                  // 0000000075F0: D2890052 00010703
	s_lshr_b32 s61, s82, 24                                    // 0000000075F8: 8F3D9852
	s_and_b32 s82, s82, 0xffffff                               // 0000000075FC: 8652FF52 00FFFFFF
	s_mul_i32 s82, s82, s71                                    // 000000007604: 92524752
	s_mul_i32 s61, s60, s61                                    // 000000007608: 923D3D3C
	s_add_u32 s82, s82, s61                                    // 00000000760C: 80523D52
	v_mul_lo_u32 v7, v4, s82                                   // 000000007610: D2850007 0000A504
	v_add_u32_e32 v65, v6, v7                                  // 000000007618: 68820F06
	v_readlane_b32 s82, v3, 4                                  // 00000000761C: D2890052 00010903
	s_lshr_b32 s61, s82, 24                                    // 000000007624: 8F3D9852
	s_and_b32 s82, s82, 0xffffff                               // 000000007628: 8652FF52 00FFFFFF
	s_mul_i32 s82, s82, s71                                    // 000000007630: 92524752
	s_mul_i32 s61, s60, s61                                    // 000000007634: 923D3D3C
	s_add_u32 s82, s82, s61                                    // 000000007638: 80523D52
	v_mul_lo_u32 v6, v5, s82                                   // 00000000763C: D2850006 0000A505
	v_readlane_b32 s82, v3, 5                                  // 000000007644: D2890052 00010B03
	s_lshr_b32 s61, s82, 24                                    // 00000000764C: 8F3D9852
	s_and_b32 s82, s82, 0xffffff                               // 000000007650: 8652FF52 00FFFFFF
	s_mul_i32 s82, s82, s71                                    // 000000007658: 92524752
	s_mul_i32 s61, s60, s61                                    // 00000000765C: 923D3D3C
	s_add_u32 s82, s82, s61                                    // 000000007660: 80523D52
	v_mul_lo_u32 v7, v4, s82                                   // 000000007664: D2850007 0000A504
	v_add_u32_e32 v66, v6, v7                                  // 00000000766C: 68840F06
	v_readlane_b32 s82, v3, 6                                  // 000000007670: D2890052 00010D03
	s_lshr_b32 s61, s82, 24                                    // 000000007678: 8F3D9852
	s_and_b32 s82, s82, 0xffffff                               // 00000000767C: 8652FF52 00FFFFFF
	s_mul_i32 s82, s82, s71                                    // 000000007684: 92524752
	s_mul_i32 s61, s60, s61                                    // 000000007688: 923D3D3C
	s_add_u32 s82, s82, s61                                    // 00000000768C: 80523D52
	v_mul_lo_u32 v6, v5, s82                                   // 000000007690: D2850006 0000A505
	v_readlane_b32 s82, v3, 7                                  // 000000007698: D2890052 00010F03
	s_lshr_b32 s61, s82, 24                                    // 0000000076A0: 8F3D9852
	s_and_b32 s82, s82, 0xffffff                               // 0000000076A4: 8652FF52 00FFFFFF
	s_mul_i32 s82, s82, s71                                    // 0000000076AC: 92524752
	s_mul_i32 s61, s60, s61                                    // 0000000076B0: 923D3D3C
	s_add_u32 s82, s82, s61                                    // 0000000076B4: 80523D52
	v_mul_lo_u32 v7, v4, s82                                   // 0000000076B8: D2850007 0000A504
	v_add_u32_e32 v67, v6, v7                                  // 0000000076C0: 68860F06
	v_readlane_b32 s82, v3, 8                                  // 0000000076C4: D2890052 00011103
	s_lshr_b32 s61, s82, 24                                    // 0000000076CC: 8F3D9852
	s_and_b32 s82, s82, 0xffffff                               // 0000000076D0: 8652FF52 00FFFFFF
	s_mul_i32 s82, s82, s71                                    // 0000000076D8: 92524752
	s_mul_i32 s61, s60, s61                                    // 0000000076DC: 923D3D3C
	s_add_u32 s82, s82, s61                                    // 0000000076E0: 80523D52
	v_mul_lo_u32 v6, v5, s82                                   // 0000000076E4: D2850006 0000A505
	v_readlane_b32 s82, v3, 9                                  // 0000000076EC: D2890052 00011303
	s_lshr_b32 s61, s82, 24                                    // 0000000076F4: 8F3D9852
	s_and_b32 s82, s82, 0xffffff                               // 0000000076F8: 8652FF52 00FFFFFF
	s_mul_i32 s82, s82, s71                                    // 000000007700: 92524752
	s_mul_i32 s61, s60, s61                                    // 000000007704: 923D3D3C
	s_add_u32 s82, s82, s61                                    // 000000007708: 80523D52
	v_mul_lo_u32 v7, v4, s82                                   // 00000000770C: D2850007 0000A504
	v_add_u32_e32 v68, v6, v7                                  // 000000007714: 68880F06
	v_readlane_b32 s82, v3, 10                                 // 000000007718: D2890052 00011503
	s_lshr_b32 s61, s82, 24                                    // 000000007720: 8F3D9852
	s_and_b32 s82, s82, 0xffffff                               // 000000007724: 8652FF52 00FFFFFF
	s_mul_i32 s82, s82, s71                                    // 00000000772C: 92524752
	s_mul_i32 s61, s60, s61                                    // 000000007730: 923D3D3C
	s_add_u32 s82, s82, s61                                    // 000000007734: 80523D52
	v_mul_lo_u32 v6, v5, s82                                   // 000000007738: D2850006 0000A505
	v_readlane_b32 s82, v3, 11                                 // 000000007740: D2890052 00011703
	s_lshr_b32 s61, s82, 24                                    // 000000007748: 8F3D9852
	s_and_b32 s82, s82, 0xffffff                               // 00000000774C: 8652FF52 00FFFFFF
	s_mul_i32 s82, s82, s71                                    // 000000007754: 92524752
	s_mul_i32 s61, s60, s61                                    // 000000007758: 923D3D3C
	s_add_u32 s82, s82, s61                                    // 00000000775C: 80523D52
	v_mul_lo_u32 v7, v4, s82                                   // 000000007760: D2850007 0000A504
	v_add_u32_e32 v69, v6, v7                                  // 000000007768: 688A0F06
	v_readlane_b32 s82, v3, 12                                 // 00000000776C: D2890052 00011903
	s_lshr_b32 s61, s82, 24                                    // 000000007774: 8F3D9852
	s_and_b32 s82, s82, 0xffffff                               // 000000007778: 8652FF52 00FFFFFF
	s_mul_i32 s82, s82, s71                                    // 000000007780: 92524752
	s_mul_i32 s61, s60, s61                                    // 000000007784: 923D3D3C
	s_add_u32 s82, s82, s61                                    // 000000007788: 80523D52
	v_mul_lo_u32 v6, v5, s82                                   // 00000000778C: D2850006 0000A505
	v_readlane_b32 s82, v3, 13                                 // 000000007794: D2890052 00011B03
	s_lshr_b32 s61, s82, 24                                    // 00000000779C: 8F3D9852
	s_and_b32 s82, s82, 0xffffff                               // 0000000077A0: 8652FF52 00FFFFFF
	s_mul_i32 s82, s82, s71                                    // 0000000077A8: 92524752
	s_mul_i32 s61, s60, s61                                    // 0000000077AC: 923D3D3C
	s_add_u32 s82, s82, s61                                    // 0000000077B0: 80523D52
	v_mul_lo_u32 v7, v4, s82                                   // 0000000077B4: D2850007 0000A504
	v_add_u32_e32 v70, v6, v7                                  // 0000000077BC: 688C0F06
	v_readlane_b32 s82, v3, 14                                 // 0000000077C0: D2890052 00011D03
	s_lshr_b32 s61, s82, 24                                    // 0000000077C8: 8F3D9852
	s_and_b32 s82, s82, 0xffffff                               // 0000000077CC: 8652FF52 00FFFFFF
	s_mul_i32 s82, s82, s71                                    // 0000000077D4: 92524752
	s_mul_i32 s61, s60, s61                                    // 0000000077D8: 923D3D3C
	s_add_u32 s82, s82, s61                                    // 0000000077DC: 80523D52
	v_mul_lo_u32 v6, v5, s82                                   // 0000000077E0: D2850006 0000A505
	v_readlane_b32 s82, v3, 15                                 // 0000000077E8: D2890052 00011F03
	s_lshr_b32 s61, s82, 24                                    // 0000000077F0: 8F3D9852
	s_and_b32 s82, s82, 0xffffff                               // 0000000077F4: 8652FF52 00FFFFFF
	s_mul_i32 s82, s82, s71                                    // 0000000077FC: 92524752
	s_mul_i32 s61, s60, s61                                    // 000000007800: 923D3D3C
	s_add_u32 s82, s82, s61                                    // 000000007804: 80523D52
	v_mul_lo_u32 v7, v4, s82                                   // 000000007808: D2850007 0000A504
	v_add_u32_e32 v71, v6, v7                                  // 000000007810: 688E0F06
	v_readlane_b32 s82, v3, 16                                 // 000000007814: D2890052 00012103
	s_lshr_b32 s61, s82, 24                                    // 00000000781C: 8F3D9852
	s_and_b32 s82, s82, 0xffffff                               // 000000007820: 8652FF52 00FFFFFF
	s_mul_i32 s82, s82, s71                                    // 000000007828: 92524752
	s_mul_i32 s61, s60, s61                                    // 00000000782C: 923D3D3C
	s_add_u32 s82, s82, s61                                    // 000000007830: 80523D52
	v_mul_lo_u32 v6, v5, s82                                   // 000000007834: D2850006 0000A505
	v_readlane_b32 s82, v3, 17                                 // 00000000783C: D2890052 00012303
	s_lshr_b32 s61, s82, 24                                    // 000000007844: 8F3D9852
	s_and_b32 s82, s82, 0xffffff                               // 000000007848: 8652FF52 00FFFFFF
	s_mul_i32 s82, s82, s71                                    // 000000007850: 92524752
	s_mul_i32 s61, s60, s61                                    // 000000007854: 923D3D3C
	s_add_u32 s82, s82, s61                                    // 000000007858: 80523D52
	v_mul_lo_u32 v7, v4, s82                                   // 00000000785C: D2850007 0000A504
	v_add_u32_e32 v72, v6, v7                                  // 000000007864: 68900F06
	v_readlane_b32 s82, v3, 18                                 // 000000007868: D2890052 00012503
	s_lshr_b32 s61, s82, 24                                    // 000000007870: 8F3D9852
	s_and_b32 s82, s82, 0xffffff                               // 000000007874: 8652FF52 00FFFFFF
	s_mul_i32 s82, s82, s71                                    // 00000000787C: 92524752
	s_mul_i32 s61, s60, s61                                    // 000000007880: 923D3D3C
	s_add_u32 s82, s82, s61                                    // 000000007884: 80523D52
	v_mul_lo_u32 v6, v5, s82                                   // 000000007888: D2850006 0000A505
	v_readlane_b32 s82, v3, 19                                 // 000000007890: D2890052 00012703
	s_lshr_b32 s61, s82, 24                                    // 000000007898: 8F3D9852
	s_and_b32 s82, s82, 0xffffff                               // 00000000789C: 8652FF52 00FFFFFF
	s_mul_i32 s82, s82, s71                                    // 0000000078A4: 92524752
	s_mul_i32 s61, s60, s61                                    // 0000000078A8: 923D3D3C
	s_add_u32 s82, s82, s61                                    // 0000000078AC: 80523D52
	v_mul_lo_u32 v7, v4, s82                                   // 0000000078B0: D2850007 0000A504
	v_add_u32_e32 v73, v6, v7                                  // 0000000078B8: 68920F06
	v_readlane_b32 s82, v3, 20                                 // 0000000078BC: D2890052 00012903
	s_lshr_b32 s61, s82, 24                                    // 0000000078C4: 8F3D9852
	s_and_b32 s82, s82, 0xffffff                               // 0000000078C8: 8652FF52 00FFFFFF
	s_mul_i32 s82, s82, s71                                    // 0000000078D0: 92524752
	s_mul_i32 s61, s60, s61                                    // 0000000078D4: 923D3D3C
	s_add_u32 s82, s82, s61                                    // 0000000078D8: 80523D52
	v_mul_lo_u32 v6, v5, s82                                   // 0000000078DC: D2850006 0000A505
	v_readlane_b32 s82, v3, 21                                 // 0000000078E4: D2890052 00012B03
	s_lshr_b32 s61, s82, 24                                    // 0000000078EC: 8F3D9852
	s_and_b32 s82, s82, 0xffffff                               // 0000000078F0: 8652FF52 00FFFFFF
	s_mul_i32 s82, s82, s71                                    // 0000000078F8: 92524752
	s_mul_i32 s61, s60, s61                                    // 0000000078FC: 923D3D3C
	s_add_u32 s82, s82, s61                                    // 000000007900: 80523D52
	v_mul_lo_u32 v7, v4, s82                                   // 000000007904: D2850007 0000A504
	v_add_u32_e32 v74, v6, v7                                  // 00000000790C: 68940F06
	v_readlane_b32 s82, v3, 22                                 // 000000007910: D2890052 00012D03
	s_lshr_b32 s61, s82, 24                                    // 000000007918: 8F3D9852
	s_and_b32 s82, s82, 0xffffff                               // 00000000791C: 8652FF52 00FFFFFF
	s_mul_i32 s82, s82, s71                                    // 000000007924: 92524752
	s_mul_i32 s61, s60, s61                                    // 000000007928: 923D3D3C
	s_add_u32 s82, s82, s61                                    // 00000000792C: 80523D52
	v_mul_lo_u32 v6, v5, s82                                   // 000000007930: D2850006 0000A505
	v_readlane_b32 s82, v3, 23                                 // 000000007938: D2890052 00012F03
	s_lshr_b32 s61, s82, 24                                    // 000000007940: 8F3D9852
	s_and_b32 s82, s82, 0xffffff                               // 000000007944: 8652FF52 00FFFFFF
	s_mul_i32 s82, s82, s71                                    // 00000000794C: 92524752
	s_mul_i32 s61, s60, s61                                    // 000000007950: 923D3D3C
	s_add_u32 s82, s82, s61                                    // 000000007954: 80523D52
	v_mul_lo_u32 v7, v4, s82                                   // 000000007958: D2850007 0000A504
	v_add_u32_e32 v75, v6, v7                                  // 000000007960: 68960F06
	v_readlane_b32 s82, v3, 24                                 // 000000007964: D2890052 00013103
	s_lshr_b32 s61, s82, 24                                    // 00000000796C: 8F3D9852
	s_and_b32 s82, s82, 0xffffff                               // 000000007970: 8652FF52 00FFFFFF
	s_mul_i32 s82, s82, s71                                    // 000000007978: 92524752
	s_mul_i32 s61, s60, s61                                    // 00000000797C: 923D3D3C
	s_add_u32 s82, s82, s61                                    // 000000007980: 80523D52
	v_mul_lo_u32 v6, v5, s82                                   // 000000007984: D2850006 0000A505
	v_readlane_b32 s82, v3, 25                                 // 00000000798C: D2890052 00013303
	s_lshr_b32 s61, s82, 24                                    // 000000007994: 8F3D9852
	s_and_b32 s82, s82, 0xffffff                               // 000000007998: 8652FF52 00FFFFFF
	s_mul_i32 s82, s82, s71                                    // 0000000079A0: 92524752
	s_mul_i32 s61, s60, s61                                    // 0000000079A4: 923D3D3C
	s_add_u32 s82, s82, s61                                    // 0000000079A8: 80523D52
	v_mul_lo_u32 v7, v4, s82                                   // 0000000079AC: D2850007 0000A504
	v_add_u32_e32 v76, v6, v7                                  // 0000000079B4: 68980F06
	v_readlane_b32 s82, v3, 26                                 // 0000000079B8: D2890052 00013503
	s_lshr_b32 s61, s82, 24                                    // 0000000079C0: 8F3D9852
	s_and_b32 s82, s82, 0xffffff                               // 0000000079C4: 8652FF52 00FFFFFF
	s_mul_i32 s82, s82, s71                                    // 0000000079CC: 92524752
	s_mul_i32 s61, s60, s61                                    // 0000000079D0: 923D3D3C
	s_add_u32 s82, s82, s61                                    // 0000000079D4: 80523D52
	v_mul_lo_u32 v6, v5, s82                                   // 0000000079D8: D2850006 0000A505
	v_readlane_b32 s82, v3, 27                                 // 0000000079E0: D2890052 00013703
	s_lshr_b32 s61, s82, 24                                    // 0000000079E8: 8F3D9852
	s_and_b32 s82, s82, 0xffffff                               // 0000000079EC: 8652FF52 00FFFFFF
	s_mul_i32 s82, s82, s71                                    // 0000000079F4: 92524752
	s_mul_i32 s61, s60, s61                                    // 0000000079F8: 923D3D3C
	s_add_u32 s82, s82, s61                                    // 0000000079FC: 80523D52
	v_mul_lo_u32 v7, v4, s82                                   // 000000007A00: D2850007 0000A504
	v_add_u32_e32 v77, v6, v7                                  // 000000007A08: 689A0F06
	v_readlane_b32 s82, v3, 28                                 // 000000007A0C: D2890052 00013903
	s_lshr_b32 s61, s82, 24                                    // 000000007A14: 8F3D9852
	s_and_b32 s82, s82, 0xffffff                               // 000000007A18: 8652FF52 00FFFFFF
	s_mul_i32 s82, s82, s71                                    // 000000007A20: 92524752
	s_mul_i32 s61, s60, s61                                    // 000000007A24: 923D3D3C
	s_add_u32 s82, s82, s61                                    // 000000007A28: 80523D52
	v_mul_lo_u32 v6, v5, s82                                   // 000000007A2C: D2850006 0000A505
	v_readlane_b32 s82, v3, 29                                 // 000000007A34: D2890052 00013B03
	s_lshr_b32 s61, s82, 24                                    // 000000007A3C: 8F3D9852
	s_and_b32 s82, s82, 0xffffff                               // 000000007A40: 8652FF52 00FFFFFF
	s_mul_i32 s82, s82, s71                                    // 000000007A48: 92524752
	s_mul_i32 s61, s60, s61                                    // 000000007A4C: 923D3D3C
	s_add_u32 s82, s82, s61                                    // 000000007A50: 80523D52
	v_mul_lo_u32 v7, v4, s82                                   // 000000007A54: D2850007 0000A504
	v_add_u32_e32 v78, v6, v7                                  // 000000007A5C: 689C0F06
	v_readlane_b32 s82, v3, 30                                 // 000000007A60: D2890052 00013D03
	s_lshr_b32 s61, s82, 24                                    // 000000007A68: 8F3D9852
	s_and_b32 s82, s82, 0xffffff                               // 000000007A6C: 8652FF52 00FFFFFF
	s_mul_i32 s82, s82, s71                                    // 000000007A74: 92524752
	s_mul_i32 s61, s60, s61                                    // 000000007A78: 923D3D3C
	s_add_u32 s82, s82, s61                                    // 000000007A7C: 80523D52
	v_mul_lo_u32 v6, v5, s82                                   // 000000007A80: D2850006 0000A505
	v_readlane_b32 s82, v3, 31                                 // 000000007A88: D2890052 00013F03
	s_lshr_b32 s61, s82, 24                                    // 000000007A90: 8F3D9852
	s_and_b32 s82, s82, 0xffffff                               // 000000007A94: 8652FF52 00FFFFFF
	s_mul_i32 s82, s82, s71                                    // 000000007A9C: 92524752
	s_mul_i32 s61, s60, s61                                    // 000000007AA0: 923D3D3C
	s_add_u32 s82, s82, s61                                    // 000000007AA4: 80523D52
	v_mul_lo_u32 v7, v4, s82                                   // 000000007AA8: D2850007 0000A504
	v_add_u32_e32 v79, v6, v7                                  // 000000007AB0: 689E0F06
	v_readlane_b32 s82, v3, 32                                 // 000000007AB4: D2890052 00014103
	s_lshr_b32 s61, s82, 24                                    // 000000007ABC: 8F3D9852
	s_and_b32 s82, s82, 0xffffff                               // 000000007AC0: 8652FF52 00FFFFFF
	s_mul_i32 s82, s82, s71                                    // 000000007AC8: 92524752
	s_mul_i32 s61, s60, s61                                    // 000000007ACC: 923D3D3C
	s_add_u32 s82, s82, s61                                    // 000000007AD0: 80523D52
	v_mul_lo_u32 v6, v5, s82                                   // 000000007AD4: D2850006 0000A505
	v_readlane_b32 s82, v3, 33                                 // 000000007ADC: D2890052 00014303
	s_lshr_b32 s61, s82, 24                                    // 000000007AE4: 8F3D9852
	s_and_b32 s82, s82, 0xffffff                               // 000000007AE8: 8652FF52 00FFFFFF
	s_mul_i32 s82, s82, s71                                    // 000000007AF0: 92524752
	s_mul_i32 s61, s60, s61                                    // 000000007AF4: 923D3D3C
	s_add_u32 s82, s82, s61                                    // 000000007AF8: 80523D52
	v_mul_lo_u32 v7, v4, s82                                   // 000000007AFC: D2850007 0000A504
	v_add_u32_e32 v80, v6, v7                                  // 000000007B04: 68A00F06
	v_readlane_b32 s82, v3, 34                                 // 000000007B08: D2890052 00014503
	s_lshr_b32 s61, s82, 24                                    // 000000007B10: 8F3D9852
	s_and_b32 s82, s82, 0xffffff                               // 000000007B14: 8652FF52 00FFFFFF
	s_mul_i32 s82, s82, s71                                    // 000000007B1C: 92524752
	s_mul_i32 s61, s60, s61                                    // 000000007B20: 923D3D3C
	s_add_u32 s82, s82, s61                                    // 000000007B24: 80523D52
	v_mul_lo_u32 v6, v5, s82                                   // 000000007B28: D2850006 0000A505
	v_readlane_b32 s82, v3, 35                                 // 000000007B30: D2890052 00014703
	s_lshr_b32 s61, s82, 24                                    // 000000007B38: 8F3D9852
	s_and_b32 s82, s82, 0xffffff                               // 000000007B3C: 8652FF52 00FFFFFF
	s_mul_i32 s82, s82, s71                                    // 000000007B44: 92524752
	s_mul_i32 s61, s60, s61                                    // 000000007B48: 923D3D3C
	s_add_u32 s82, s82, s61                                    // 000000007B4C: 80523D52
	v_mul_lo_u32 v7, v4, s82                                   // 000000007B50: D2850007 0000A504
	v_add_u32_e32 v81, v6, v7                                  // 000000007B58: 68A20F06
	v_and_b32_e32 v4, 31, v0                                   // 000000007B5C: 2608009F
	v_lshrrev_b32_e32 v4, 1, v4                                // 000000007B60: 20080881
	s_cmp_eq_u32 s88, 0                                        // 000000007B64: BF068058
	s_cselect_b32 s61, 2, 4                                    // 000000007B68: 853D8482
	v_mul_lo_u32 v4, v4, s61                                   // 000000007B6C: D2850004 00007B04
	v_and_b32_e64 v5, v0, 1                                    // 000000007B74: D1130005 00010300
	v_add_u32_e32 v4, v4, v5                                   // 000000007B7C: 68080B04
	v_lshlrev_b32_e32 v4, 2, v4                                // 000000007B80: 24080882
	v_add_u32_e32 v64, v64, v4                                 // 000000007B84: 68800940
	v_add_u32_e32 v65, v65, v4                                 // 000000007B88: 68820941
	v_add_u32_e32 v66, v66, v4                                 // 000000007B8C: 68840942
	v_add_u32_e32 v67, v67, v4                                 // 000000007B90: 68860943
	v_add_u32_e32 v68, v68, v4                                 // 000000007B94: 68880944
	v_add_u32_e32 v69, v69, v4                                 // 000000007B98: 688A0945
	v_add_u32_e32 v70, v70, v4                                 // 000000007B9C: 688C0946
	v_add_u32_e32 v71, v71, v4                                 // 000000007BA0: 688E0947
	v_add_u32_e32 v72, v72, v4                                 // 000000007BA4: 68900948
	v_add_u32_e32 v73, v73, v4                                 // 000000007BA8: 68920949
	v_add_u32_e32 v74, v74, v4                                 // 000000007BAC: 6894094A
	v_add_u32_e32 v75, v75, v4                                 // 000000007BB0: 6896094B
	v_add_u32_e32 v76, v76, v4                                 // 000000007BB4: 6898094C
	v_add_u32_e32 v77, v77, v4                                 // 000000007BB8: 689A094D
	v_add_u32_e32 v78, v78, v4                                 // 000000007BBC: 689C094E
	v_add_u32_e32 v79, v79, v4                                 // 000000007BC0: 689E094F
	v_add_u32_e32 v80, v80, v4                                 // 000000007BC4: 68A00950
	v_add_u32_e32 v81, v81, v4                                 // 000000007BC8: 68A20951
	s_waitcnt lgkmcnt(0)                                       // 000000007BCC: BF8CC07F
	s_barrier                                                  // 000000007BD0: BF8A0000
	ds_read_b32 v84, v21                                       // 000000007BD4: D86C0000 54000015
	ds_read_b32 v85, v21 offset:64                             // 000000007BDC: D86C0040 55000015
	ds_read_b32 v86, v21 offset:2176                           // 000000007BE4: D86C0880 56000015
	ds_read_b32 v87, v21 offset:2240                           // 000000007BEC: D86C08C0 57000015
	ds_read_b32 v88, v21 offset:4352                           // 000000007BF4: D86C1100 58000015
	ds_read_b32 v89, v21 offset:4416                           // 000000007BFC: D86C1140 59000015
	ds_read_b32 v90, v21 offset:6528                           // 000000007C04: D86C1980 5A000015
	ds_read_b32 v91, v21 offset:6592                           // 000000007C0C: D86C19C0 5B000015
	ds_read_b32 v92, v21 offset:8704                           // 000000007C14: D86C2200 5C000015
	ds_read_b32 v93, v21 offset:8768                           // 000000007C1C: D86C2240 5D000015
	ds_read_b32 v94, v21 offset:10880                          // 000000007C24: D86C2A80 5E000015
	ds_read_b32 v95, v21 offset:10944                          // 000000007C2C: D86C2AC0 5F000015
	ds_read_b32 v96, v21 offset:13056                          // 000000007C34: D86C3300 60000015
	ds_read_b32 v97, v21 offset:13120                          // 000000007C3C: D86C3340 61000015
	ds_read_b32 v98, v21 offset:15232                          // 000000007C44: D86C3B80 62000015
	ds_read_b32 v99, v21 offset:15296                          // 000000007C4C: D86C3BC0 63000015
	ds_read_b32 v100, v21 offset:17408                         // 000000007C54: D86C4400 64000015
	ds_read_b32 v101, v21 offset:17472                         // 000000007C5C: D86C4440 65000015
	s_waitcnt lgkmcnt(0)                                       // 000000007C64: BF8CC07F
	s_mov_b32 s36, -1                                          // 000000007C68: BEA400C1
	s_mov_b32 s37, -1                                          // 000000007C6C: BEA500C1
	v_mov_b32_e32 v7, 0                                        // 000000007C70: 7E0E0280
	s_or_b32 s9, s9, 0x40000                                   // 000000007C74: 8709FF09 00040000
	s_mov_b64 exec, s[36:37]                                   // 000000007C7C: BEFE0124
	v_mov_b32_e32 v6, v64                                      // 000000007C80: 7E0C0340
	s_mov_b64 s[60:61], 0                                      // 000000007C84: BEBC0180
	v_readlane_b32 s82, v3, 0                                  // 000000007C88: D2890052 00010103
	s_and_b32 s82, s82, 0xffffff                               // 000000007C90: 8652FF52 00FFFFFF
	s_cmp_lt_u32 s82, s66                                      // 000000007C98: BF0A4252
	s_cselect_b32 s20, s36, s60                                // 000000007C9C: 85143C24
	v_readlane_b32 s82, v3, 1                                  // 000000007CA0: D2890052 00010303
	s_and_b32 s82, s82, 0xffffff                               // 000000007CA8: 8652FF52 00FFFFFF
	s_cmp_lt_u32 s82, s66                                      // 000000007CB0: BF0A4252
	s_cselect_b32 s21, s36, s60                                // 000000007CB4: 85153C24
	s_mov_b64 exec, s[20:21]                                   // 000000007CB8: BEFE0114
	buffer_store_dword v84, v6, s[8:11], 0 offen               // 000000007CBC: E0701000 80025406
	s_mov_b64 exec, s[36:37]                                   // 000000007CC4: BEFE0124
	v_mov_b32_e32 v6, v65                                      // 000000007CC8: 7E0C0341
	s_mov_b64 s[60:61], 0                                      // 000000007CCC: BEBC0180
	v_readlane_b32 s82, v3, 2                                  // 000000007CD0: D2890052 00010503
	s_and_b32 s82, s82, 0xffffff                               // 000000007CD8: 8652FF52 00FFFFFF
	s_cmp_lt_u32 s82, s66                                      // 000000007CE0: BF0A4252
	s_cselect_b32 s20, s36, s60                                // 000000007CE4: 85143C24
	v_readlane_b32 s82, v3, 3                                  // 000000007CE8: D2890052 00010703
	s_and_b32 s82, s82, 0xffffff                               // 000000007CF0: 8652FF52 00FFFFFF
	s_cmp_lt_u32 s82, s66                                      // 000000007CF8: BF0A4252
	s_cselect_b32 s21, s36, s60                                // 000000007CFC: 85153C24
	s_mov_b64 exec, s[20:21]                                   // 000000007D00: BEFE0114
	buffer_store_dword v85, v6, s[8:11], 0 offen               // 000000007D04: E0701000 80025506
	s_mov_b64 exec, s[36:37]                                   // 000000007D0C: BEFE0124
	v_mov_b32_e32 v6, v66                                      // 000000007D10: 7E0C0342
	s_mov_b64 s[60:61], 0                                      // 000000007D14: BEBC0180
	v_readlane_b32 s82, v3, 4                                  // 000000007D18: D2890052 00010903
	s_and_b32 s82, s82, 0xffffff                               // 000000007D20: 8652FF52 00FFFFFF
	s_cmp_lt_u32 s82, s66                                      // 000000007D28: BF0A4252
	s_cselect_b32 s20, s36, s60                                // 000000007D2C: 85143C24
	v_readlane_b32 s82, v3, 5                                  // 000000007D30: D2890052 00010B03
	s_and_b32 s82, s82, 0xffffff                               // 000000007D38: 8652FF52 00FFFFFF
	s_cmp_lt_u32 s82, s66                                      // 000000007D40: BF0A4252
	s_cselect_b32 s21, s36, s60                                // 000000007D44: 85153C24
	s_mov_b64 exec, s[20:21]                                   // 000000007D48: BEFE0114
	buffer_store_dword v86, v6, s[8:11], 0 offen               // 000000007D4C: E0701000 80025606
	s_mov_b64 exec, s[36:37]                                   // 000000007D54: BEFE0124
	v_mov_b32_e32 v6, v67                                      // 000000007D58: 7E0C0343
	s_mov_b64 s[60:61], 0                                      // 000000007D5C: BEBC0180
	v_readlane_b32 s82, v3, 6                                  // 000000007D60: D2890052 00010D03
	s_and_b32 s82, s82, 0xffffff                               // 000000007D68: 8652FF52 00FFFFFF
	s_cmp_lt_u32 s82, s66                                      // 000000007D70: BF0A4252
	s_cselect_b32 s20, s36, s60                                // 000000007D74: 85143C24
	v_readlane_b32 s82, v3, 7                                  // 000000007D78: D2890052 00010F03
	s_and_b32 s82, s82, 0xffffff                               // 000000007D80: 8652FF52 00FFFFFF
	s_cmp_lt_u32 s82, s66                                      // 000000007D88: BF0A4252
	s_cselect_b32 s21, s36, s60                                // 000000007D8C: 85153C24
	s_mov_b64 exec, s[20:21]                                   // 000000007D90: BEFE0114
	buffer_store_dword v87, v6, s[8:11], 0 offen               // 000000007D94: E0701000 80025706
	s_mov_b64 exec, s[36:37]                                   // 000000007D9C: BEFE0124
	v_mov_b32_e32 v6, v68                                      // 000000007DA0: 7E0C0344
	s_mov_b64 s[60:61], 0                                      // 000000007DA4: BEBC0180
	v_readlane_b32 s82, v3, 8                                  // 000000007DA8: D2890052 00011103
	s_and_b32 s82, s82, 0xffffff                               // 000000007DB0: 8652FF52 00FFFFFF
	s_cmp_lt_u32 s82, s66                                      // 000000007DB8: BF0A4252
	s_cselect_b32 s20, s36, s60                                // 000000007DBC: 85143C24
	v_readlane_b32 s82, v3, 9                                  // 000000007DC0: D2890052 00011303
	s_and_b32 s82, s82, 0xffffff                               // 000000007DC8: 8652FF52 00FFFFFF
	s_cmp_lt_u32 s82, s66                                      // 000000007DD0: BF0A4252
	s_cselect_b32 s21, s36, s60                                // 000000007DD4: 85153C24
	s_mov_b64 exec, s[20:21]                                   // 000000007DD8: BEFE0114
	buffer_store_dword v88, v6, s[8:11], 0 offen               // 000000007DDC: E0701000 80025806
	s_mov_b64 exec, s[36:37]                                   // 000000007DE4: BEFE0124
	v_mov_b32_e32 v6, v69                                      // 000000007DE8: 7E0C0345
	s_mov_b64 s[60:61], 0                                      // 000000007DEC: BEBC0180
	v_readlane_b32 s82, v3, 10                                 // 000000007DF0: D2890052 00011503
	s_and_b32 s82, s82, 0xffffff                               // 000000007DF8: 8652FF52 00FFFFFF
	s_cmp_lt_u32 s82, s66                                      // 000000007E00: BF0A4252
	s_cselect_b32 s20, s36, s60                                // 000000007E04: 85143C24
	v_readlane_b32 s82, v3, 11                                 // 000000007E08: D2890052 00011703
	s_and_b32 s82, s82, 0xffffff                               // 000000007E10: 8652FF52 00FFFFFF
	s_cmp_lt_u32 s82, s66                                      // 000000007E18: BF0A4252
	s_cselect_b32 s21, s36, s60                                // 000000007E1C: 85153C24
	s_mov_b64 exec, s[20:21]                                   // 000000007E20: BEFE0114
	buffer_store_dword v89, v6, s[8:11], 0 offen               // 000000007E24: E0701000 80025906
	s_mov_b64 exec, s[36:37]                                   // 000000007E2C: BEFE0124
	v_mov_b32_e32 v6, v70                                      // 000000007E30: 7E0C0346
	s_mov_b64 s[60:61], 0                                      // 000000007E34: BEBC0180
	v_readlane_b32 s82, v3, 12                                 // 000000007E38: D2890052 00011903
	s_and_b32 s82, s82, 0xffffff                               // 000000007E40: 8652FF52 00FFFFFF
	s_cmp_lt_u32 s82, s66                                      // 000000007E48: BF0A4252
	s_cselect_b32 s20, s36, s60                                // 000000007E4C: 85143C24
	v_readlane_b32 s82, v3, 13                                 // 000000007E50: D2890052 00011B03
	s_and_b32 s82, s82, 0xffffff                               // 000000007E58: 8652FF52 00FFFFFF
	s_cmp_lt_u32 s82, s66                                      // 000000007E60: BF0A4252
	s_cselect_b32 s21, s36, s60                                // 000000007E64: 85153C24
	s_mov_b64 exec, s[20:21]                                   // 000000007E68: BEFE0114
	buffer_store_dword v90, v6, s[8:11], 0 offen               // 000000007E6C: E0701000 80025A06
	s_mov_b64 exec, s[36:37]                                   // 000000007E74: BEFE0124
	v_mov_b32_e32 v6, v71                                      // 000000007E78: 7E0C0347
	s_mov_b64 s[60:61], 0                                      // 000000007E7C: BEBC0180
	v_readlane_b32 s82, v3, 14                                 // 000000007E80: D2890052 00011D03
	s_and_b32 s82, s82, 0xffffff                               // 000000007E88: 8652FF52 00FFFFFF
	s_cmp_lt_u32 s82, s66                                      // 000000007E90: BF0A4252
	s_cselect_b32 s20, s36, s60                                // 000000007E94: 85143C24
	v_readlane_b32 s82, v3, 15                                 // 000000007E98: D2890052 00011F03
	s_and_b32 s82, s82, 0xffffff                               // 000000007EA0: 8652FF52 00FFFFFF
	s_cmp_lt_u32 s82, s66                                      // 000000007EA8: BF0A4252
	s_cselect_b32 s21, s36, s60                                // 000000007EAC: 85153C24
	s_mov_b64 exec, s[20:21]                                   // 000000007EB0: BEFE0114
	buffer_store_dword v91, v6, s[8:11], 0 offen               // 000000007EB4: E0701000 80025B06
	s_mov_b64 exec, s[36:37]                                   // 000000007EBC: BEFE0124
	v_mov_b32_e32 v6, v72                                      // 000000007EC0: 7E0C0348
	s_mov_b64 s[60:61], 0                                      // 000000007EC4: BEBC0180
	v_readlane_b32 s82, v3, 16                                 // 000000007EC8: D2890052 00012103
	s_and_b32 s82, s82, 0xffffff                               // 000000007ED0: 8652FF52 00FFFFFF
	s_cmp_lt_u32 s82, s66                                      // 000000007ED8: BF0A4252
	s_cselect_b32 s20, s36, s60                                // 000000007EDC: 85143C24
	v_readlane_b32 s82, v3, 17                                 // 000000007EE0: D2890052 00012303
	s_and_b32 s82, s82, 0xffffff                               // 000000007EE8: 8652FF52 00FFFFFF
	s_cmp_lt_u32 s82, s66                                      // 000000007EF0: BF0A4252
	s_cselect_b32 s21, s36, s60                                // 000000007EF4: 85153C24
	s_mov_b64 exec, s[20:21]                                   // 000000007EF8: BEFE0114
	buffer_store_dword v92, v6, s[8:11], 0 offen               // 000000007EFC: E0701000 80025C06
	s_mov_b64 exec, s[36:37]                                   // 000000007F04: BEFE0124
	v_mov_b32_e32 v6, v73                                      // 000000007F08: 7E0C0349
	s_mov_b64 s[60:61], 0                                      // 000000007F0C: BEBC0180
	v_readlane_b32 s82, v3, 18                                 // 000000007F10: D2890052 00012503
	s_and_b32 s82, s82, 0xffffff                               // 000000007F18: 8652FF52 00FFFFFF
	s_cmp_lt_u32 s82, s66                                      // 000000007F20: BF0A4252
	s_cselect_b32 s20, s36, s60                                // 000000007F24: 85143C24
	v_readlane_b32 s82, v3, 19                                 // 000000007F28: D2890052 00012703
	s_and_b32 s82, s82, 0xffffff                               // 000000007F30: 8652FF52 00FFFFFF
	s_cmp_lt_u32 s82, s66                                      // 000000007F38: BF0A4252
	s_cselect_b32 s21, s36, s60                                // 000000007F3C: 85153C24
	s_mov_b64 exec, s[20:21]                                   // 000000007F40: BEFE0114
	buffer_store_dword v93, v6, s[8:11], 0 offen               // 000000007F44: E0701000 80025D06
	s_mov_b64 exec, s[36:37]                                   // 000000007F4C: BEFE0124
	v_mov_b32_e32 v6, v74                                      // 000000007F50: 7E0C034A
	s_mov_b64 s[60:61], 0                                      // 000000007F54: BEBC0180
	v_readlane_b32 s82, v3, 20                                 // 000000007F58: D2890052 00012903
	s_and_b32 s82, s82, 0xffffff                               // 000000007F60: 8652FF52 00FFFFFF
	s_cmp_lt_u32 s82, s66                                      // 000000007F68: BF0A4252
	s_cselect_b32 s20, s36, s60                                // 000000007F6C: 85143C24
	v_readlane_b32 s82, v3, 21                                 // 000000007F70: D2890052 00012B03
	s_and_b32 s82, s82, 0xffffff                               // 000000007F78: 8652FF52 00FFFFFF
	s_cmp_lt_u32 s82, s66                                      // 000000007F80: BF0A4252
	s_cselect_b32 s21, s36, s60                                // 000000007F84: 85153C24
	s_mov_b64 exec, s[20:21]                                   // 000000007F88: BEFE0114
	buffer_store_dword v94, v6, s[8:11], 0 offen               // 000000007F8C: E0701000 80025E06
	s_mov_b64 exec, s[36:37]                                   // 000000007F94: BEFE0124
	v_mov_b32_e32 v6, v75                                      // 000000007F98: 7E0C034B
	s_mov_b64 s[60:61], 0                                      // 000000007F9C: BEBC0180
	v_readlane_b32 s82, v3, 22                                 // 000000007FA0: D2890052 00012D03
	s_and_b32 s82, s82, 0xffffff                               // 000000007FA8: 8652FF52 00FFFFFF
	s_cmp_lt_u32 s82, s66                                      // 000000007FB0: BF0A4252
	s_cselect_b32 s20, s36, s60                                // 000000007FB4: 85143C24
	v_readlane_b32 s82, v3, 23                                 // 000000007FB8: D2890052 00012F03
	s_and_b32 s82, s82, 0xffffff                               // 000000007FC0: 8652FF52 00FFFFFF
	s_cmp_lt_u32 s82, s66                                      // 000000007FC8: BF0A4252
	s_cselect_b32 s21, s36, s60                                // 000000007FCC: 85153C24
	s_mov_b64 exec, s[20:21]                                   // 000000007FD0: BEFE0114
	buffer_store_dword v95, v6, s[8:11], 0 offen               // 000000007FD4: E0701000 80025F06
	s_mov_b64 exec, s[36:37]                                   // 000000007FDC: BEFE0124
	v_mov_b32_e32 v6, v76                                      // 000000007FE0: 7E0C034C
	s_mov_b64 s[60:61], 0                                      // 000000007FE4: BEBC0180
	v_readlane_b32 s82, v3, 24                                 // 000000007FE8: D2890052 00013103
	s_and_b32 s82, s82, 0xffffff                               // 000000007FF0: 8652FF52 00FFFFFF
	s_cmp_lt_u32 s82, s66                                      // 000000007FF8: BF0A4252
	s_cselect_b32 s20, s36, s60                                // 000000007FFC: 85143C24
	v_readlane_b32 s82, v3, 25                                 // 000000008000: D2890052 00013303
	s_and_b32 s82, s82, 0xffffff                               // 000000008008: 8652FF52 00FFFFFF
	s_cmp_lt_u32 s82, s66                                      // 000000008010: BF0A4252
	s_cselect_b32 s21, s36, s60                                // 000000008014: 85153C24
	s_mov_b64 exec, s[20:21]                                   // 000000008018: BEFE0114
	buffer_store_dword v96, v6, s[8:11], 0 offen               // 00000000801C: E0701000 80026006
	s_mov_b64 exec, s[36:37]                                   // 000000008024: BEFE0124
	v_mov_b32_e32 v6, v77                                      // 000000008028: 7E0C034D
	s_mov_b64 s[60:61], 0                                      // 00000000802C: BEBC0180
	v_readlane_b32 s82, v3, 26                                 // 000000008030: D2890052 00013503
	s_and_b32 s82, s82, 0xffffff                               // 000000008038: 8652FF52 00FFFFFF
	s_cmp_lt_u32 s82, s66                                      // 000000008040: BF0A4252
	s_cselect_b32 s20, s36, s60                                // 000000008044: 85143C24
	v_readlane_b32 s82, v3, 27                                 // 000000008048: D2890052 00013703
	s_and_b32 s82, s82, 0xffffff                               // 000000008050: 8652FF52 00FFFFFF
	s_cmp_lt_u32 s82, s66                                      // 000000008058: BF0A4252
	s_cselect_b32 s21, s36, s60                                // 00000000805C: 85153C24
	s_mov_b64 exec, s[20:21]                                   // 000000008060: BEFE0114
	buffer_store_dword v97, v6, s[8:11], 0 offen               // 000000008064: E0701000 80026106
	s_mov_b64 exec, s[36:37]                                   // 00000000806C: BEFE0124
	v_mov_b32_e32 v6, v78                                      // 000000008070: 7E0C034E
	s_mov_b64 s[60:61], 0                                      // 000000008074: BEBC0180
	v_readlane_b32 s82, v3, 28                                 // 000000008078: D2890052 00013903
	s_and_b32 s82, s82, 0xffffff                               // 000000008080: 8652FF52 00FFFFFF
	s_cmp_lt_u32 s82, s66                                      // 000000008088: BF0A4252
	s_cselect_b32 s20, s36, s60                                // 00000000808C: 85143C24
	v_readlane_b32 s82, v3, 29                                 // 000000008090: D2890052 00013B03
	s_and_b32 s82, s82, 0xffffff                               // 000000008098: 8652FF52 00FFFFFF
	s_cmp_lt_u32 s82, s66                                      // 0000000080A0: BF0A4252
	s_cselect_b32 s21, s36, s60                                // 0000000080A4: 85153C24
	s_mov_b64 exec, s[20:21]                                   // 0000000080A8: BEFE0114
	buffer_store_dword v98, v6, s[8:11], 0 offen               // 0000000080AC: E0701000 80026206
	s_mov_b64 exec, s[36:37]                                   // 0000000080B4: BEFE0124
	v_mov_b32_e32 v6, v79                                      // 0000000080B8: 7E0C034F
	s_mov_b64 s[60:61], 0                                      // 0000000080BC: BEBC0180
	v_readlane_b32 s82, v3, 30                                 // 0000000080C0: D2890052 00013D03
	s_and_b32 s82, s82, 0xffffff                               // 0000000080C8: 8652FF52 00FFFFFF
	s_cmp_lt_u32 s82, s66                                      // 0000000080D0: BF0A4252
	s_cselect_b32 s20, s36, s60                                // 0000000080D4: 85143C24
	v_readlane_b32 s82, v3, 31                                 // 0000000080D8: D2890052 00013F03
	s_and_b32 s82, s82, 0xffffff                               // 0000000080E0: 8652FF52 00FFFFFF
	s_cmp_lt_u32 s82, s66                                      // 0000000080E8: BF0A4252
	s_cselect_b32 s21, s36, s60                                // 0000000080EC: 85153C24
	s_mov_b64 exec, s[20:21]                                   // 0000000080F0: BEFE0114
	buffer_store_dword v99, v6, s[8:11], 0 offen               // 0000000080F4: E0701000 80026306
	s_mov_b64 exec, s[36:37]                                   // 0000000080FC: BEFE0124
	v_mov_b32_e32 v6, v80                                      // 000000008100: 7E0C0350
	s_mov_b64 s[60:61], 0                                      // 000000008104: BEBC0180
	v_readlane_b32 s82, v3, 32                                 // 000000008108: D2890052 00014103
	s_and_b32 s82, s82, 0xffffff                               // 000000008110: 8652FF52 00FFFFFF
	s_cmp_lt_u32 s82, s66                                      // 000000008118: BF0A4252
	s_cselect_b32 s20, s36, s60                                // 00000000811C: 85143C24
	v_readlane_b32 s82, v3, 33                                 // 000000008120: D2890052 00014303
	s_and_b32 s82, s82, 0xffffff                               // 000000008128: 8652FF52 00FFFFFF
	s_cmp_lt_u32 s82, s66                                      // 000000008130: BF0A4252
	s_cselect_b32 s21, s36, s60                                // 000000008134: 85153C24
	s_mov_b64 exec, s[20:21]                                   // 000000008138: BEFE0114
	buffer_store_dword v100, v6, s[8:11], 0 offen              // 00000000813C: E0701000 80026406
	s_mov_b64 exec, s[36:37]                                   // 000000008144: BEFE0124
	v_mov_b32_e32 v6, v81                                      // 000000008148: 7E0C0351
	s_mov_b64 s[60:61], 0                                      // 00000000814C: BEBC0180
	v_readlane_b32 s82, v3, 34                                 // 000000008150: D2890052 00014503
	s_and_b32 s82, s82, 0xffffff                               // 000000008158: 8652FF52 00FFFFFF
	s_cmp_lt_u32 s82, s66                                      // 000000008160: BF0A4252
	s_cselect_b32 s20, s36, s60                                // 000000008164: 85143C24
	v_readlane_b32 s82, v3, 35                                 // 000000008168: D2890052 00014703
	s_and_b32 s82, s82, 0xffffff                               // 000000008170: 8652FF52 00FFFFFF
	s_cmp_lt_u32 s82, s66                                      // 000000008178: BF0A4252
	s_cselect_b32 s21, s36, s60                                // 00000000817C: 85153C24
	s_mov_b64 exec, s[20:21]                                   // 000000008180: BEFE0114
	buffer_store_dword v101, v6, s[8:11], 0 offen              // 000000008184: E0701000 80026506
	s_mov_b64 exec, s[36:37]                                   // 00000000818C: BEFE0124
	s_cmp_eq_u32 s7, 0                                         // 000000008190: BF068007
	s_cbranch_scc0 label_3AC8                                  // 000000008194: BF8424DF
	s_waitcnt vmcnt(18)                                        // 000000008198: BF8C4F72
	s_mov_b32 s8, s90                                          // 00000000819C: BE88005A
	s_mov_b32 s9, s91                                          // 0000000081A0: BE89005B
	s_mul_i32 s60, s66, s71                                    // 0000000081A4: 923C4742
	s_add_u32 s8, s60, s8                                      // 0000000081A8: 8008083C
	s_addc_u32 s9, 0, s9                                       // 0000000081AC: 82090980
	s_lshr_b32 s71, s71, 5                                     // 0000000081B0: 8F478547
	s_mul_i32 s60, s66, s71                                    // 0000000081B4: 923C4742
	s_mov_b32 s10, s60                                         // 0000000081B8: BE8A003C
	s_lshr_b32 s61, s65, 5                                     // 0000000081BC: 8F3D8541
	s_mul_i32 s60, s2, 4                                       // 0000000081C0: 923C8402
	v_lshrrev_b32_e32 v4, 24, v28                              // 0000000081C4: 20083898
	v_mul_lo_u32 v4, s61, v4                                   // 0000000081C8: D2850004 0002083D
	v_and_b32_e32 v28, 0xffffff, v28                           // 0000000081D0: 263838FF 00FFFFFF
	v_mul_lo_u32 v28, s71, v28                                 // 0000000081D8: D285001C 00023847
	v_add_u32_e32 v28, v4, v28                                 // 0000000081E0: 68383904
	v_add_u32_e32 v28, s60, v28                                // 0000000081E4: 6838383C
	v_lshrrev_b32_e32 v4, 24, v29                              // 0000000081E8: 20083A98
	v_mul_lo_u32 v4, s61, v4                                   // 0000000081EC: D2850004 0002083D
	v_and_b32_e32 v29, 0xffffff, v29                           // 0000000081F4: 263A3AFF 00FFFFFF
	v_mul_lo_u32 v29, s71, v29                                 // 0000000081FC: D285001D 00023A47
	v_add_u32_e32 v29, v4, v29                                 // 000000008204: 683A3B04
	v_add_u32_e32 v29, s60, v29                                // 000000008208: 683A3A3C
	v_lshrrev_b32_e32 v4, 24, v30                              // 00000000820C: 20083C98
	v_mul_lo_u32 v4, s61, v4                                   // 000000008210: D2850004 0002083D
	v_and_b32_e32 v30, 0xffffff, v30                           // 000000008218: 263C3CFF 00FFFFFF
	v_mul_lo_u32 v30, s71, v30                                 // 000000008220: D285001E 00023C47
	v_add_u32_e32 v30, v4, v30                                 // 000000008228: 683C3D04
	v_add_u32_e32 v30, s60, v30                                // 00000000822C: 683C3C3C
	v_lshrrev_b32_e32 v4, 24, v31                              // 000000008230: 20083E98
	v_mul_lo_u32 v4, s61, v4                                   // 000000008234: D2850004 0002083D
	v_and_b32_e32 v31, 0xffffff, v31                           // 00000000823C: 263E3EFF 00FFFFFF
	v_mul_lo_u32 v31, s71, v31                                 // 000000008244: D285001F 00023E47
	v_add_u32_e32 v31, v4, v31                                 // 00000000824C: 683E3F04
	v_add_u32_e32 v31, s60, v31                                // 000000008250: 683E3E3C
	v_lshrrev_b32_e32 v4, 24, v32                              // 000000008254: 20084098
	v_mul_lo_u32 v4, s61, v4                                   // 000000008258: D2850004 0002083D
	v_and_b32_e32 v32, 0xffffff, v32                           // 000000008260: 264040FF 00FFFFFF
	v_mul_lo_u32 v32, s71, v32                                 // 000000008268: D2850020 00024047
	v_add_u32_e32 v32, v4, v32                                 // 000000008270: 68404104
	v_add_u32_e32 v32, s60, v32                                // 000000008274: 6840403C
	v_lshrrev_b32_e32 v4, 24, v33                              // 000000008278: 20084298
	v_mul_lo_u32 v4, s61, v4                                   // 00000000827C: D2850004 0002083D
	v_and_b32_e32 v33, 0xffffff, v33                           // 000000008284: 264242FF 00FFFFFF
	v_mul_lo_u32 v33, s71, v33                                 // 00000000828C: D2850021 00024247
	v_add_u32_e32 v33, v4, v33                                 // 000000008294: 68424304
	v_add_u32_e32 v33, s60, v33                                // 000000008298: 6842423C
	v_lshrrev_b32_e32 v4, 24, v34                              // 00000000829C: 20084498
	v_mul_lo_u32 v4, s61, v4                                   // 0000000082A0: D2850004 0002083D
	v_and_b32_e32 v34, 0xffffff, v34                           // 0000000082A8: 264444FF 00FFFFFF
	v_mul_lo_u32 v34, s71, v34                                 // 0000000082B0: D2850022 00024447
	v_add_u32_e32 v34, v4, v34                                 // 0000000082B8: 68444504
	v_add_u32_e32 v34, s60, v34                                // 0000000082BC: 6844443C
	v_lshrrev_b32_e32 v4, 24, v35                              // 0000000082C0: 20084698
	v_mul_lo_u32 v4, s61, v4                                   // 0000000082C4: D2850004 0002083D
	v_and_b32_e32 v35, 0xffffff, v35                           // 0000000082CC: 264646FF 00FFFFFF
	v_mul_lo_u32 v35, s71, v35                                 // 0000000082D4: D2850023 00024647
	v_add_u32_e32 v35, v4, v35                                 // 0000000082DC: 68464704
	v_add_u32_e32 v35, s60, v35                                // 0000000082E0: 6846463C
	v_lshrrev_b32_e32 v4, 24, v36                              // 0000000082E4: 20084898
	v_mul_lo_u32 v4, s61, v4                                   // 0000000082E8: D2850004 0002083D
	v_and_b32_e32 v36, 0xffffff, v36                           // 0000000082F0: 264848FF 00FFFFFF
	v_mul_lo_u32 v36, s71, v36                                 // 0000000082F8: D2850024 00024847
	v_add_u32_e32 v36, v4, v36                                 // 000000008300: 68484904
	v_add_u32_e32 v36, s60, v36                                // 000000008304: 6848483C
	s_mov_b64 exec, 0xffff                                     // 000000008308: BEFE01FF 0000FFFF
	buffer_store_dword v156, v28, s[8:11], 0 offen             // 000000008310: E0701000 80029C1C
	buffer_store_dword v157, v29, s[8:11], 0 offen             // 000000008318: E0701000 80029D1D
	buffer_store_dword v158, v30, s[8:11], 0 offen             // 000000008320: E0701000 80029E1E
	buffer_store_dword v159, v31, s[8:11], 0 offen             // 000000008328: E0701000 80029F1F
	buffer_store_dword v160, v32, s[8:11], 0 offen             // 000000008330: E0701000 8002A020
	buffer_store_dword v161, v33, s[8:11], 0 offen             // 000000008338: E0701000 8002A121
	buffer_store_dword v162, v34, s[8:11], 0 offen             // 000000008340: E0701000 8002A222
	buffer_store_dword v163, v35, s[8:11], 0 offen             // 000000008348: E0701000 8002A323
	buffer_store_dword v164, v36, s[8:11], 0 offen             // 000000008350: E0701000 8002A424
	s_mov_b64 exec, s[36:37]                                   // 000000008358: BEFE0124
	s_branch label_3AC8                                        // 00000000835C: BF82246D

0000000000008360 <label_1658>:
	ds_write_b64 v20, v[84:85]                                 // 000000008360: D89A0000 00005414
	ds_write_b64 v20, v[88:89] offset:4352                     // 000000008368: D89A1100 00005814
	ds_write_b64 v20, v[92:93] offset:8704                     // 000000008370: D89A2200 00005C14
	ds_write_b64 v20, v[96:97] offset:13056                    // 000000008378: D89A3300 00006014
	ds_write_b64 v20, v[100:101] offset:17408                  // 000000008380: D89A4400 00006414
	ds_write_b64 v20, v[104:105] offset:21760                  // 000000008388: D89A5500 00006814
	ds_write_b64 v20, v[108:109] offset:26112                  // 000000008390: D89A6600 00006C14
	ds_write_b64 v20, v[112:113] offset:30464                  // 000000008398: D89A7700 00007014
	ds_write_b64 v20, v[116:117] offset:34816                  // 0000000083A0: D89A8800 00007414
	ds_write_b64 v20, v[120:121] offset:2176                   // 0000000083A8: D89A0880 00007814
	ds_write_b64 v20, v[124:125] offset:6528                   // 0000000083B0: D89A1980 00007C14
	ds_write_b64 v20, v[128:129] offset:10880                  // 0000000083B8: D89A2A80 00008014
	ds_write_b64 v20, v[132:133] offset:15232                  // 0000000083C0: D89A3B80 00008414
	ds_write_b64 v20, v[136:137] offset:19584                  // 0000000083C8: D89A4C80 00008814
	ds_write_b64 v20, v[140:141] offset:23936                  // 0000000083D0: D89A5D80 00008C14
	ds_write_b64 v20, v[144:145] offset:28288                  // 0000000083D8: D89A6E80 00009014
	ds_write_b64 v20, v[148:149] offset:32640                  // 0000000083E0: D89A7F80 00009414
	ds_write_b64 v20, v[152:153] offset:36992                  // 0000000083E8: D89A9080 00009814
	v_lshrrev_b32_e32 v4, 5, v0                                // 0000000083F0: 20080085
	v_xor_b32_e32 v5, 1, v4                                    // 0000000083F4: 2A0A0881
	s_mul_i32 s60, s65, 1                                      // 0000000083F8: 923C8141
	s_cmp_eq_u32 s88, 0                                        // 0000000083FC: BF068058
	s_cselect_b32 s61, 1, 8                                    // 000000008400: 853D8881
	s_mul_i32 s60, s61, s60                                    // 000000008404: 923C3C3D
	v_readlane_b32 s82, v3, 0                                  // 000000008408: D2890052 00010103
	s_lshr_b32 s61, s82, 24                                    // 000000008410: 8F3D9852
	s_and_b32 s82, s82, 0xffffff                               // 000000008414: 8652FF52 00FFFFFF
	s_mul_i32 s82, s82, s71                                    // 00000000841C: 92524752
	s_mul_i32 s61, s60, s61                                    // 000000008420: 923D3D3C
	s_add_u32 s82, s82, s61                                    // 000000008424: 80523D52
	v_mul_lo_u32 v6, v5, s82                                   // 000000008428: D2850006 0000A505
	v_readlane_b32 s82, v3, 1                                  // 000000008430: D2890052 00010303
	s_lshr_b32 s61, s82, 24                                    // 000000008438: 8F3D9852
	s_and_b32 s82, s82, 0xffffff                               // 00000000843C: 8652FF52 00FFFFFF
	s_mul_i32 s82, s82, s71                                    // 000000008444: 92524752
	s_mul_i32 s61, s60, s61                                    // 000000008448: 923D3D3C
	s_add_u32 s82, s82, s61                                    // 00000000844C: 80523D52
	v_mul_lo_u32 v7, v4, s82                                   // 000000008450: D2850007 0000A504
	v_add_u32_e32 v64, v6, v7                                  // 000000008458: 68800F06
	v_readlane_b32 s82, v3, 2                                  // 00000000845C: D2890052 00010503
	s_lshr_b32 s61, s82, 24                                    // 000000008464: 8F3D9852
	s_and_b32 s82, s82, 0xffffff                               // 000000008468: 8652FF52 00FFFFFF
	s_mul_i32 s82, s82, s71                                    // 000000008470: 92524752
	s_mul_i32 s61, s60, s61                                    // 000000008474: 923D3D3C
	s_add_u32 s82, s82, s61                                    // 000000008478: 80523D52
	v_mul_lo_u32 v6, v5, s82                                   // 00000000847C: D2850006 0000A505
	v_readlane_b32 s82, v3, 3                                  // 000000008484: D2890052 00010703
	s_lshr_b32 s61, s82, 24                                    // 00000000848C: 8F3D9852
	s_and_b32 s82, s82, 0xffffff                               // 000000008490: 8652FF52 00FFFFFF
	s_mul_i32 s82, s82, s71                                    // 000000008498: 92524752
	s_mul_i32 s61, s60, s61                                    // 00000000849C: 923D3D3C
	s_add_u32 s82, s82, s61                                    // 0000000084A0: 80523D52
	v_mul_lo_u32 v7, v4, s82                                   // 0000000084A4: D2850007 0000A504
	v_add_u32_e32 v65, v6, v7                                  // 0000000084AC: 68820F06
	v_readlane_b32 s82, v3, 4                                  // 0000000084B0: D2890052 00010903
	s_lshr_b32 s61, s82, 24                                    // 0000000084B8: 8F3D9852
	s_and_b32 s82, s82, 0xffffff                               // 0000000084BC: 8652FF52 00FFFFFF
	s_mul_i32 s82, s82, s71                                    // 0000000084C4: 92524752
	s_mul_i32 s61, s60, s61                                    // 0000000084C8: 923D3D3C
	s_add_u32 s82, s82, s61                                    // 0000000084CC: 80523D52
	v_mul_lo_u32 v6, v5, s82                                   // 0000000084D0: D2850006 0000A505
	v_readlane_b32 s82, v3, 5                                  // 0000000084D8: D2890052 00010B03
	s_lshr_b32 s61, s82, 24                                    // 0000000084E0: 8F3D9852
	s_and_b32 s82, s82, 0xffffff                               // 0000000084E4: 8652FF52 00FFFFFF
	s_mul_i32 s82, s82, s71                                    // 0000000084EC: 92524752
	s_mul_i32 s61, s60, s61                                    // 0000000084F0: 923D3D3C
	s_add_u32 s82, s82, s61                                    // 0000000084F4: 80523D52
	v_mul_lo_u32 v7, v4, s82                                   // 0000000084F8: D2850007 0000A504
	v_add_u32_e32 v66, v6, v7                                  // 000000008500: 68840F06
	v_readlane_b32 s82, v3, 6                                  // 000000008504: D2890052 00010D03
	s_lshr_b32 s61, s82, 24                                    // 00000000850C: 8F3D9852
	s_and_b32 s82, s82, 0xffffff                               // 000000008510: 8652FF52 00FFFFFF
	s_mul_i32 s82, s82, s71                                    // 000000008518: 92524752
	s_mul_i32 s61, s60, s61                                    // 00000000851C: 923D3D3C
	s_add_u32 s82, s82, s61                                    // 000000008520: 80523D52
	v_mul_lo_u32 v6, v5, s82                                   // 000000008524: D2850006 0000A505
	v_readlane_b32 s82, v3, 7                                  // 00000000852C: D2890052 00010F03
	s_lshr_b32 s61, s82, 24                                    // 000000008534: 8F3D9852
	s_and_b32 s82, s82, 0xffffff                               // 000000008538: 8652FF52 00FFFFFF
	s_mul_i32 s82, s82, s71                                    // 000000008540: 92524752
	s_mul_i32 s61, s60, s61                                    // 000000008544: 923D3D3C
	s_add_u32 s82, s82, s61                                    // 000000008548: 80523D52
	v_mul_lo_u32 v7, v4, s82                                   // 00000000854C: D2850007 0000A504
	v_add_u32_e32 v67, v6, v7                                  // 000000008554: 68860F06
	v_readlane_b32 s82, v3, 8                                  // 000000008558: D2890052 00011103
	s_lshr_b32 s61, s82, 24                                    // 000000008560: 8F3D9852
	s_and_b32 s82, s82, 0xffffff                               // 000000008564: 8652FF52 00FFFFFF
	s_mul_i32 s82, s82, s71                                    // 00000000856C: 92524752
	s_mul_i32 s61, s60, s61                                    // 000000008570: 923D3D3C
	s_add_u32 s82, s82, s61                                    // 000000008574: 80523D52
	v_mul_lo_u32 v6, v5, s82                                   // 000000008578: D2850006 0000A505
	v_readlane_b32 s82, v3, 9                                  // 000000008580: D2890052 00011303
	s_lshr_b32 s61, s82, 24                                    // 000000008588: 8F3D9852
	s_and_b32 s82, s82, 0xffffff                               // 00000000858C: 8652FF52 00FFFFFF
	s_mul_i32 s82, s82, s71                                    // 000000008594: 92524752
	s_mul_i32 s61, s60, s61                                    // 000000008598: 923D3D3C
	s_add_u32 s82, s82, s61                                    // 00000000859C: 80523D52
	v_mul_lo_u32 v7, v4, s82                                   // 0000000085A0: D2850007 0000A504
	v_add_u32_e32 v68, v6, v7                                  // 0000000085A8: 68880F06
	v_readlane_b32 s82, v3, 10                                 // 0000000085AC: D2890052 00011503
	s_lshr_b32 s61, s82, 24                                    // 0000000085B4: 8F3D9852
	s_and_b32 s82, s82, 0xffffff                               // 0000000085B8: 8652FF52 00FFFFFF
	s_mul_i32 s82, s82, s71                                    // 0000000085C0: 92524752
	s_mul_i32 s61, s60, s61                                    // 0000000085C4: 923D3D3C
	s_add_u32 s82, s82, s61                                    // 0000000085C8: 80523D52
	v_mul_lo_u32 v6, v5, s82                                   // 0000000085CC: D2850006 0000A505
	v_readlane_b32 s82, v3, 11                                 // 0000000085D4: D2890052 00011703
	s_lshr_b32 s61, s82, 24                                    // 0000000085DC: 8F3D9852
	s_and_b32 s82, s82, 0xffffff                               // 0000000085E0: 8652FF52 00FFFFFF
	s_mul_i32 s82, s82, s71                                    // 0000000085E8: 92524752
	s_mul_i32 s61, s60, s61                                    // 0000000085EC: 923D3D3C
	s_add_u32 s82, s82, s61                                    // 0000000085F0: 80523D52
	v_mul_lo_u32 v7, v4, s82                                   // 0000000085F4: D2850007 0000A504
	v_add_u32_e32 v69, v6, v7                                  // 0000000085FC: 688A0F06
	v_readlane_b32 s82, v3, 12                                 // 000000008600: D2890052 00011903
	s_lshr_b32 s61, s82, 24                                    // 000000008608: 8F3D9852
	s_and_b32 s82, s82, 0xffffff                               // 00000000860C: 8652FF52 00FFFFFF
	s_mul_i32 s82, s82, s71                                    // 000000008614: 92524752
	s_mul_i32 s61, s60, s61                                    // 000000008618: 923D3D3C
	s_add_u32 s82, s82, s61                                    // 00000000861C: 80523D52
	v_mul_lo_u32 v6, v5, s82                                   // 000000008620: D2850006 0000A505
	v_readlane_b32 s82, v3, 13                                 // 000000008628: D2890052 00011B03
	s_lshr_b32 s61, s82, 24                                    // 000000008630: 8F3D9852
	s_and_b32 s82, s82, 0xffffff                               // 000000008634: 8652FF52 00FFFFFF
	s_mul_i32 s82, s82, s71                                    // 00000000863C: 92524752
	s_mul_i32 s61, s60, s61                                    // 000000008640: 923D3D3C
	s_add_u32 s82, s82, s61                                    // 000000008644: 80523D52
	v_mul_lo_u32 v7, v4, s82                                   // 000000008648: D2850007 0000A504
	v_add_u32_e32 v70, v6, v7                                  // 000000008650: 688C0F06
	v_readlane_b32 s82, v3, 14                                 // 000000008654: D2890052 00011D03
	s_lshr_b32 s61, s82, 24                                    // 00000000865C: 8F3D9852
	s_and_b32 s82, s82, 0xffffff                               // 000000008660: 8652FF52 00FFFFFF
	s_mul_i32 s82, s82, s71                                    // 000000008668: 92524752
	s_mul_i32 s61, s60, s61                                    // 00000000866C: 923D3D3C
	s_add_u32 s82, s82, s61                                    // 000000008670: 80523D52
	v_mul_lo_u32 v6, v5, s82                                   // 000000008674: D2850006 0000A505
	v_readlane_b32 s82, v3, 15                                 // 00000000867C: D2890052 00011F03
	s_lshr_b32 s61, s82, 24                                    // 000000008684: 8F3D9852
	s_and_b32 s82, s82, 0xffffff                               // 000000008688: 8652FF52 00FFFFFF
	s_mul_i32 s82, s82, s71                                    // 000000008690: 92524752
	s_mul_i32 s61, s60, s61                                    // 000000008694: 923D3D3C
	s_add_u32 s82, s82, s61                                    // 000000008698: 80523D52
	v_mul_lo_u32 v7, v4, s82                                   // 00000000869C: D2850007 0000A504
	v_add_u32_e32 v71, v6, v7                                  // 0000000086A4: 688E0F06
	v_readlane_b32 s82, v3, 16                                 // 0000000086A8: D2890052 00012103
	s_lshr_b32 s61, s82, 24                                    // 0000000086B0: 8F3D9852
	s_and_b32 s82, s82, 0xffffff                               // 0000000086B4: 8652FF52 00FFFFFF
	s_mul_i32 s82, s82, s71                                    // 0000000086BC: 92524752
	s_mul_i32 s61, s60, s61                                    // 0000000086C0: 923D3D3C
	s_add_u32 s82, s82, s61                                    // 0000000086C4: 80523D52
	v_mul_lo_u32 v6, v5, s82                                   // 0000000086C8: D2850006 0000A505
	v_readlane_b32 s82, v3, 17                                 // 0000000086D0: D2890052 00012303
	s_lshr_b32 s61, s82, 24                                    // 0000000086D8: 8F3D9852
	s_and_b32 s82, s82, 0xffffff                               // 0000000086DC: 8652FF52 00FFFFFF
	s_mul_i32 s82, s82, s71                                    // 0000000086E4: 92524752
	s_mul_i32 s61, s60, s61                                    // 0000000086E8: 923D3D3C
	s_add_u32 s82, s82, s61                                    // 0000000086EC: 80523D52
	v_mul_lo_u32 v7, v4, s82                                   // 0000000086F0: D2850007 0000A504
	v_add_u32_e32 v72, v6, v7                                  // 0000000086F8: 68900F06
	v_readlane_b32 s82, v3, 18                                 // 0000000086FC: D2890052 00012503
	s_lshr_b32 s61, s82, 24                                    // 000000008704: 8F3D9852
	s_and_b32 s82, s82, 0xffffff                               // 000000008708: 8652FF52 00FFFFFF
	s_mul_i32 s82, s82, s71                                    // 000000008710: 92524752
	s_mul_i32 s61, s60, s61                                    // 000000008714: 923D3D3C
	s_add_u32 s82, s82, s61                                    // 000000008718: 80523D52
	v_mul_lo_u32 v6, v5, s82                                   // 00000000871C: D2850006 0000A505
	v_readlane_b32 s82, v3, 19                                 // 000000008724: D2890052 00012703
	s_lshr_b32 s61, s82, 24                                    // 00000000872C: 8F3D9852
	s_and_b32 s82, s82, 0xffffff                               // 000000008730: 8652FF52 00FFFFFF
	s_mul_i32 s82, s82, s71                                    // 000000008738: 92524752
	s_mul_i32 s61, s60, s61                                    // 00000000873C: 923D3D3C
	s_add_u32 s82, s82, s61                                    // 000000008740: 80523D52
	v_mul_lo_u32 v7, v4, s82                                   // 000000008744: D2850007 0000A504
	v_add_u32_e32 v73, v6, v7                                  // 00000000874C: 68920F06
	v_readlane_b32 s82, v3, 20                                 // 000000008750: D2890052 00012903
	s_lshr_b32 s61, s82, 24                                    // 000000008758: 8F3D9852
	s_and_b32 s82, s82, 0xffffff                               // 00000000875C: 8652FF52 00FFFFFF
	s_mul_i32 s82, s82, s71                                    // 000000008764: 92524752
	s_mul_i32 s61, s60, s61                                    // 000000008768: 923D3D3C
	s_add_u32 s82, s82, s61                                    // 00000000876C: 80523D52
	v_mul_lo_u32 v6, v5, s82                                   // 000000008770: D2850006 0000A505
	v_readlane_b32 s82, v3, 21                                 // 000000008778: D2890052 00012B03
	s_lshr_b32 s61, s82, 24                                    // 000000008780: 8F3D9852
	s_and_b32 s82, s82, 0xffffff                               // 000000008784: 8652FF52 00FFFFFF
	s_mul_i32 s82, s82, s71                                    // 00000000878C: 92524752
	s_mul_i32 s61, s60, s61                                    // 000000008790: 923D3D3C
	s_add_u32 s82, s82, s61                                    // 000000008794: 80523D52
	v_mul_lo_u32 v7, v4, s82                                   // 000000008798: D2850007 0000A504
	v_add_u32_e32 v74, v6, v7                                  // 0000000087A0: 68940F06
	v_readlane_b32 s82, v3, 22                                 // 0000000087A4: D2890052 00012D03
	s_lshr_b32 s61, s82, 24                                    // 0000000087AC: 8F3D9852
	s_and_b32 s82, s82, 0xffffff                               // 0000000087B0: 8652FF52 00FFFFFF
	s_mul_i32 s82, s82, s71                                    // 0000000087B8: 92524752
	s_mul_i32 s61, s60, s61                                    // 0000000087BC: 923D3D3C
	s_add_u32 s82, s82, s61                                    // 0000000087C0: 80523D52
	v_mul_lo_u32 v6, v5, s82                                   // 0000000087C4: D2850006 0000A505
	v_readlane_b32 s82, v3, 23                                 // 0000000087CC: D2890052 00012F03
	s_lshr_b32 s61, s82, 24                                    // 0000000087D4: 8F3D9852
	s_and_b32 s82, s82, 0xffffff                               // 0000000087D8: 8652FF52 00FFFFFF
	s_mul_i32 s82, s82, s71                                    // 0000000087E0: 92524752
	s_mul_i32 s61, s60, s61                                    // 0000000087E4: 923D3D3C
	s_add_u32 s82, s82, s61                                    // 0000000087E8: 80523D52
	v_mul_lo_u32 v7, v4, s82                                   // 0000000087EC: D2850007 0000A504
	v_add_u32_e32 v75, v6, v7                                  // 0000000087F4: 68960F06
	v_readlane_b32 s82, v3, 24                                 // 0000000087F8: D2890052 00013103
	s_lshr_b32 s61, s82, 24                                    // 000000008800: 8F3D9852
	s_and_b32 s82, s82, 0xffffff                               // 000000008804: 8652FF52 00FFFFFF
	s_mul_i32 s82, s82, s71                                    // 00000000880C: 92524752
	s_mul_i32 s61, s60, s61                                    // 000000008810: 923D3D3C
	s_add_u32 s82, s82, s61                                    // 000000008814: 80523D52
	v_mul_lo_u32 v6, v5, s82                                   // 000000008818: D2850006 0000A505
	v_readlane_b32 s82, v3, 25                                 // 000000008820: D2890052 00013303
	s_lshr_b32 s61, s82, 24                                    // 000000008828: 8F3D9852
	s_and_b32 s82, s82, 0xffffff                               // 00000000882C: 8652FF52 00FFFFFF
	s_mul_i32 s82, s82, s71                                    // 000000008834: 92524752
	s_mul_i32 s61, s60, s61                                    // 000000008838: 923D3D3C
	s_add_u32 s82, s82, s61                                    // 00000000883C: 80523D52
	v_mul_lo_u32 v7, v4, s82                                   // 000000008840: D2850007 0000A504
	v_add_u32_e32 v76, v6, v7                                  // 000000008848: 68980F06
	v_readlane_b32 s82, v3, 26                                 // 00000000884C: D2890052 00013503
	s_lshr_b32 s61, s82, 24                                    // 000000008854: 8F3D9852
	s_and_b32 s82, s82, 0xffffff                               // 000000008858: 8652FF52 00FFFFFF
	s_mul_i32 s82, s82, s71                                    // 000000008860: 92524752
	s_mul_i32 s61, s60, s61                                    // 000000008864: 923D3D3C
	s_add_u32 s82, s82, s61                                    // 000000008868: 80523D52
	v_mul_lo_u32 v6, v5, s82                                   // 00000000886C: D2850006 0000A505
	v_readlane_b32 s82, v3, 27                                 // 000000008874: D2890052 00013703
	s_lshr_b32 s61, s82, 24                                    // 00000000887C: 8F3D9852
	s_and_b32 s82, s82, 0xffffff                               // 000000008880: 8652FF52 00FFFFFF
	s_mul_i32 s82, s82, s71                                    // 000000008888: 92524752
	s_mul_i32 s61, s60, s61                                    // 00000000888C: 923D3D3C
	s_add_u32 s82, s82, s61                                    // 000000008890: 80523D52
	v_mul_lo_u32 v7, v4, s82                                   // 000000008894: D2850007 0000A504
	v_add_u32_e32 v77, v6, v7                                  // 00000000889C: 689A0F06
	v_readlane_b32 s82, v3, 28                                 // 0000000088A0: D2890052 00013903
	s_lshr_b32 s61, s82, 24                                    // 0000000088A8: 8F3D9852
	s_and_b32 s82, s82, 0xffffff                               // 0000000088AC: 8652FF52 00FFFFFF
	s_mul_i32 s82, s82, s71                                    // 0000000088B4: 92524752
	s_mul_i32 s61, s60, s61                                    // 0000000088B8: 923D3D3C
	s_add_u32 s82, s82, s61                                    // 0000000088BC: 80523D52
	v_mul_lo_u32 v6, v5, s82                                   // 0000000088C0: D2850006 0000A505
	v_readlane_b32 s82, v3, 29                                 // 0000000088C8: D2890052 00013B03
	s_lshr_b32 s61, s82, 24                                    // 0000000088D0: 8F3D9852
	s_and_b32 s82, s82, 0xffffff                               // 0000000088D4: 8652FF52 00FFFFFF
	s_mul_i32 s82, s82, s71                                    // 0000000088DC: 92524752
	s_mul_i32 s61, s60, s61                                    // 0000000088E0: 923D3D3C
	s_add_u32 s82, s82, s61                                    // 0000000088E4: 80523D52
	v_mul_lo_u32 v7, v4, s82                                   // 0000000088E8: D2850007 0000A504
	v_add_u32_e32 v78, v6, v7                                  // 0000000088F0: 689C0F06
	v_readlane_b32 s82, v3, 30                                 // 0000000088F4: D2890052 00013D03
	s_lshr_b32 s61, s82, 24                                    // 0000000088FC: 8F3D9852
	s_and_b32 s82, s82, 0xffffff                               // 000000008900: 8652FF52 00FFFFFF
	s_mul_i32 s82, s82, s71                                    // 000000008908: 92524752
	s_mul_i32 s61, s60, s61                                    // 00000000890C: 923D3D3C
	s_add_u32 s82, s82, s61                                    // 000000008910: 80523D52
	v_mul_lo_u32 v6, v5, s82                                   // 000000008914: D2850006 0000A505
	v_readlane_b32 s82, v3, 31                                 // 00000000891C: D2890052 00013F03
	s_lshr_b32 s61, s82, 24                                    // 000000008924: 8F3D9852
	s_and_b32 s82, s82, 0xffffff                               // 000000008928: 8652FF52 00FFFFFF
	s_mul_i32 s82, s82, s71                                    // 000000008930: 92524752
	s_mul_i32 s61, s60, s61                                    // 000000008934: 923D3D3C
	s_add_u32 s82, s82, s61                                    // 000000008938: 80523D52
	v_mul_lo_u32 v7, v4, s82                                   // 00000000893C: D2850007 0000A504
	v_add_u32_e32 v79, v6, v7                                  // 000000008944: 689E0F06
	v_readlane_b32 s82, v3, 32                                 // 000000008948: D2890052 00014103
	s_lshr_b32 s61, s82, 24                                    // 000000008950: 8F3D9852
	s_and_b32 s82, s82, 0xffffff                               // 000000008954: 8652FF52 00FFFFFF
	s_mul_i32 s82, s82, s71                                    // 00000000895C: 92524752
	s_mul_i32 s61, s60, s61                                    // 000000008960: 923D3D3C
	s_add_u32 s82, s82, s61                                    // 000000008964: 80523D52
	v_mul_lo_u32 v6, v5, s82                                   // 000000008968: D2850006 0000A505
	v_readlane_b32 s82, v3, 33                                 // 000000008970: D2890052 00014303
	s_lshr_b32 s61, s82, 24                                    // 000000008978: 8F3D9852
	s_and_b32 s82, s82, 0xffffff                               // 00000000897C: 8652FF52 00FFFFFF
	s_mul_i32 s82, s82, s71                                    // 000000008984: 92524752
	s_mul_i32 s61, s60, s61                                    // 000000008988: 923D3D3C
	s_add_u32 s82, s82, s61                                    // 00000000898C: 80523D52
	v_mul_lo_u32 v7, v4, s82                                   // 000000008990: D2850007 0000A504
	v_add_u32_e32 v80, v6, v7                                  // 000000008998: 68A00F06
	v_readlane_b32 s82, v3, 34                                 // 00000000899C: D2890052 00014503
	s_lshr_b32 s61, s82, 24                                    // 0000000089A4: 8F3D9852
	s_and_b32 s82, s82, 0xffffff                               // 0000000089A8: 8652FF52 00FFFFFF
	s_mul_i32 s82, s82, s71                                    // 0000000089B0: 92524752
	s_mul_i32 s61, s60, s61                                    // 0000000089B4: 923D3D3C
	s_add_u32 s82, s82, s61                                    // 0000000089B8: 80523D52
	v_mul_lo_u32 v6, v5, s82                                   // 0000000089BC: D2850006 0000A505
	v_readlane_b32 s82, v3, 35                                 // 0000000089C4: D2890052 00014703
	s_lshr_b32 s61, s82, 24                                    // 0000000089CC: 8F3D9852
	s_and_b32 s82, s82, 0xffffff                               // 0000000089D0: 8652FF52 00FFFFFF
	s_mul_i32 s82, s82, s71                                    // 0000000089D8: 92524752
	s_mul_i32 s61, s60, s61                                    // 0000000089DC: 923D3D3C
	s_add_u32 s82, s82, s61                                    // 0000000089E0: 80523D52
	v_mul_lo_u32 v7, v4, s82                                   // 0000000089E4: D2850007 0000A504
	v_add_u32_e32 v81, v6, v7                                  // 0000000089EC: 68A20F06
	v_and_b32_e32 v4, 31, v0                                   // 0000000089F0: 2608009F
	v_lshrrev_b32_e32 v4, 1, v4                                // 0000000089F4: 20080881
	s_cmp_eq_u32 s88, 0                                        // 0000000089F8: BF068058
	s_cselect_b32 s61, 2, 4                                    // 0000000089FC: 853D8482
	v_mul_lo_u32 v4, v4, s61                                   // 000000008A00: D2850004 00007B04
	v_and_b32_e64 v5, v0, 1                                    // 000000008A08: D1130005 00010300
	v_add_u32_e32 v4, v4, v5                                   // 000000008A10: 68080B04
	v_lshlrev_b32_e32 v4, 2, v4                                // 000000008A14: 24080882
	v_add_u32_e32 v64, v64, v4                                 // 000000008A18: 68800940
	v_add_u32_e32 v65, v65, v4                                 // 000000008A1C: 68820941
	v_add_u32_e32 v66, v66, v4                                 // 000000008A20: 68840942
	v_add_u32_e32 v67, v67, v4                                 // 000000008A24: 68860943
	v_add_u32_e32 v68, v68, v4                                 // 000000008A28: 68880944
	v_add_u32_e32 v69, v69, v4                                 // 000000008A2C: 688A0945
	v_add_u32_e32 v70, v70, v4                                 // 000000008A30: 688C0946
	v_add_u32_e32 v71, v71, v4                                 // 000000008A34: 688E0947
	v_add_u32_e32 v72, v72, v4                                 // 000000008A38: 68900948
	v_add_u32_e32 v73, v73, v4                                 // 000000008A3C: 68920949
	v_add_u32_e32 v74, v74, v4                                 // 000000008A40: 6894094A
	v_add_u32_e32 v75, v75, v4                                 // 000000008A44: 6896094B
	v_add_u32_e32 v76, v76, v4                                 // 000000008A48: 6898094C
	v_add_u32_e32 v77, v77, v4                                 // 000000008A4C: 689A094D
	v_add_u32_e32 v78, v78, v4                                 // 000000008A50: 689C094E
	v_add_u32_e32 v79, v79, v4                                 // 000000008A54: 689E094F
	v_add_u32_e32 v80, v80, v4                                 // 000000008A58: 68A00950
	v_add_u32_e32 v81, v81, v4                                 // 000000008A5C: 68A20951
	s_waitcnt lgkmcnt(0)                                       // 000000008A60: BF8CC07F
	s_barrier                                                  // 000000008A64: BF8A0000
	ds_read_b32 v84, v21                                       // 000000008A68: D86C0000 54000015
	ds_read_b32 v85, v21 offset:64                             // 000000008A70: D86C0040 55000015
	ds_read_b32 v88, v21 offset:2176                           // 000000008A78: D86C0880 58000015
	ds_read_b32 v89, v21 offset:2240                           // 000000008A80: D86C08C0 59000015
	ds_read_b32 v92, v21 offset:4352                           // 000000008A88: D86C1100 5C000015
	ds_read_b32 v93, v21 offset:4416                           // 000000008A90: D86C1140 5D000015
	ds_read_b32 v96, v21 offset:6528                           // 000000008A98: D86C1980 60000015
	ds_read_b32 v97, v21 offset:6592                           // 000000008AA0: D86C19C0 61000015
	ds_read_b32 v100, v21 offset:8704                          // 000000008AA8: D86C2200 64000015
	ds_read_b32 v101, v21 offset:8768                          // 000000008AB0: D86C2240 65000015
	ds_read_b32 v104, v21 offset:10880                         // 000000008AB8: D86C2A80 68000015
	ds_read_b32 v105, v21 offset:10944                         // 000000008AC0: D86C2AC0 69000015
	ds_read_b32 v108, v21 offset:13056                         // 000000008AC8: D86C3300 6C000015
	ds_read_b32 v109, v21 offset:13120                         // 000000008AD0: D86C3340 6D000015
	ds_read_b32 v112, v21 offset:15232                         // 000000008AD8: D86C3B80 70000015
	ds_read_b32 v113, v21 offset:15296                         // 000000008AE0: D86C3BC0 71000015
	ds_read_b32 v116, v21 offset:17408                         // 000000008AE8: D86C4400 74000015
	ds_read_b32 v117, v21 offset:17472                         // 000000008AF0: D86C4440 75000015
	ds_read_b32 v120, v21 offset:19584                         // 000000008AF8: D86C4C80 78000015
	ds_read_b32 v121, v21 offset:19648                         // 000000008B00: D86C4CC0 79000015
	ds_read_b32 v124, v21 offset:21760                         // 000000008B08: D86C5500 7C000015
	ds_read_b32 v125, v21 offset:21824                         // 000000008B10: D86C5540 7D000015
	ds_read_b32 v128, v21 offset:23936                         // 000000008B18: D86C5D80 80000015
	ds_read_b32 v129, v21 offset:24000                         // 000000008B20: D86C5DC0 81000015
	ds_read_b32 v132, v21 offset:26112                         // 000000008B28: D86C6600 84000015
	ds_read_b32 v133, v21 offset:26176                         // 000000008B30: D86C6640 85000015
	ds_read_b32 v136, v21 offset:28288                         // 000000008B38: D86C6E80 88000015
	ds_read_b32 v137, v21 offset:28352                         // 000000008B40: D86C6EC0 89000015
	ds_read_b32 v140, v21 offset:30464                         // 000000008B48: D86C7700 8C000015
	ds_read_b32 v141, v21 offset:30528                         // 000000008B50: D86C7740 8D000015
	ds_read_b32 v144, v21 offset:32640                         // 000000008B58: D86C7F80 90000015
	ds_read_b32 v145, v21 offset:32704                         // 000000008B60: D86C7FC0 91000015
	ds_read_b32 v148, v21 offset:34816                         // 000000008B68: D86C8800 94000015
	ds_read_b32 v149, v21 offset:34880                         // 000000008B70: D86C8840 95000015
	ds_read_b32 v152, v21 offset:36992                         // 000000008B78: D86C9080 98000015
	ds_read_b32 v153, v21 offset:37056                         // 000000008B80: D86C90C0 99000015
	s_waitcnt lgkmcnt(0)                                       // 000000008B88: BF8CC07F
	s_mov_b32 s36, -1                                          // 000000008B8C: BEA400C1
	s_mov_b32 s37, -1                                          // 000000008B90: BEA500C1
	v_mov_b32_e32 v7, 0                                        // 000000008B94: 7E0E0280
	s_mov_b64 exec, s[36:37]                                   // 000000008B98: BEFE0124
	v_mov_b32_e32 v6, v64                                      // 000000008B9C: 7E0C0340
	s_mov_b64 s[60:61], 0                                      // 000000008BA0: BEBC0180
	v_readlane_b32 s82, v3, 0                                  // 000000008BA4: D2890052 00010103
	s_and_b32 s82, s82, 0xffffff                               // 000000008BAC: 8652FF52 00FFFFFF
	s_cmp_lt_u32 s82, s66                                      // 000000008BB4: BF0A4252
	s_cselect_b32 s20, s36, s60                                // 000000008BB8: 85143C24
	v_readlane_b32 s82, v3, 1                                  // 000000008BBC: D2890052 00010303
	s_and_b32 s82, s82, 0xffffff                               // 000000008BC4: 8652FF52 00FFFFFF
	s_cmp_lt_u32 s82, s66                                      // 000000008BCC: BF0A4252
	s_cselect_b32 s21, s36, s60                                // 000000008BD0: 85153C24
	s_mov_b64 exec, s[20:21]                                   // 000000008BD4: BEFE0114
	global_atomic_add_f32 v6, v84, s[8:9]                      // 000000008BD8: DD348000 00085406
	global_atomic_add_f32 v6, v88, s[8:9] offset:256           // 000000008BE0: DD348100 00085806
	s_mov_b64 exec, s[36:37]                                   // 000000008BE8: BEFE0124
	v_mov_b32_e32 v6, v65                                      // 000000008BEC: 7E0C0341
	s_mov_b64 s[60:61], 0                                      // 000000008BF0: BEBC0180
	v_readlane_b32 s82, v3, 2                                  // 000000008BF4: D2890052 00010503
	s_and_b32 s82, s82, 0xffffff                               // 000000008BFC: 8652FF52 00FFFFFF
	s_cmp_lt_u32 s82, s66                                      // 000000008C04: BF0A4252
	s_cselect_b32 s20, s36, s60                                // 000000008C08: 85143C24
	v_readlane_b32 s82, v3, 3                                  // 000000008C0C: D2890052 00010703
	s_and_b32 s82, s82, 0xffffff                               // 000000008C14: 8652FF52 00FFFFFF
	s_cmp_lt_u32 s82, s66                                      // 000000008C1C: BF0A4252
	s_cselect_b32 s21, s36, s60                                // 000000008C20: 85153C24
	s_mov_b64 exec, s[20:21]                                   // 000000008C24: BEFE0114
	global_atomic_add_f32 v6, v85, s[8:9]                      // 000000008C28: DD348000 00085506
	global_atomic_add_f32 v6, v89, s[8:9] offset:256           // 000000008C30: DD348100 00085906
	s_mov_b64 exec, s[36:37]                                   // 000000008C38: BEFE0124
	v_mov_b32_e32 v6, v66                                      // 000000008C3C: 7E0C0342
	s_mov_b64 s[60:61], 0                                      // 000000008C40: BEBC0180
	v_readlane_b32 s82, v3, 4                                  // 000000008C44: D2890052 00010903
	s_and_b32 s82, s82, 0xffffff                               // 000000008C4C: 8652FF52 00FFFFFF
	s_cmp_lt_u32 s82, s66                                      // 000000008C54: BF0A4252
	s_cselect_b32 s20, s36, s60                                // 000000008C58: 85143C24
	v_readlane_b32 s82, v3, 5                                  // 000000008C5C: D2890052 00010B03
	s_and_b32 s82, s82, 0xffffff                               // 000000008C64: 8652FF52 00FFFFFF
	s_cmp_lt_u32 s82, s66                                      // 000000008C6C: BF0A4252
	s_cselect_b32 s21, s36, s60                                // 000000008C70: 85153C24
	s_mov_b64 exec, s[20:21]                                   // 000000008C74: BEFE0114
	global_atomic_add_f32 v6, v92, s[8:9]                      // 000000008C78: DD348000 00085C06
	global_atomic_add_f32 v6, v96, s[8:9] offset:256           // 000000008C80: DD348100 00086006
	s_mov_b64 exec, s[36:37]                                   // 000000008C88: BEFE0124
	v_mov_b32_e32 v6, v67                                      // 000000008C8C: 7E0C0343
	s_mov_b64 s[60:61], 0                                      // 000000008C90: BEBC0180
	v_readlane_b32 s82, v3, 6                                  // 000000008C94: D2890052 00010D03
	s_and_b32 s82, s82, 0xffffff                               // 000000008C9C: 8652FF52 00FFFFFF
	s_cmp_lt_u32 s82, s66                                      // 000000008CA4: BF0A4252
	s_cselect_b32 s20, s36, s60                                // 000000008CA8: 85143C24
	v_readlane_b32 s82, v3, 7                                  // 000000008CAC: D2890052 00010F03
	s_and_b32 s82, s82, 0xffffff                               // 000000008CB4: 8652FF52 00FFFFFF
	s_cmp_lt_u32 s82, s66                                      // 000000008CBC: BF0A4252
	s_cselect_b32 s21, s36, s60                                // 000000008CC0: 85153C24
	s_mov_b64 exec, s[20:21]                                   // 000000008CC4: BEFE0114
	global_atomic_add_f32 v6, v93, s[8:9]                      // 000000008CC8: DD348000 00085D06
	global_atomic_add_f32 v6, v97, s[8:9] offset:256           // 000000008CD0: DD348100 00086106
	s_mov_b64 exec, s[36:37]                                   // 000000008CD8: BEFE0124
	v_mov_b32_e32 v6, v68                                      // 000000008CDC: 7E0C0344
	s_mov_b64 s[60:61], 0                                      // 000000008CE0: BEBC0180
	v_readlane_b32 s82, v3, 8                                  // 000000008CE4: D2890052 00011103
	s_and_b32 s82, s82, 0xffffff                               // 000000008CEC: 8652FF52 00FFFFFF
	s_cmp_lt_u32 s82, s66                                      // 000000008CF4: BF0A4252
	s_cselect_b32 s20, s36, s60                                // 000000008CF8: 85143C24
	v_readlane_b32 s82, v3, 9                                  // 000000008CFC: D2890052 00011303
	s_and_b32 s82, s82, 0xffffff                               // 000000008D04: 8652FF52 00FFFFFF
	s_cmp_lt_u32 s82, s66                                      // 000000008D0C: BF0A4252
	s_cselect_b32 s21, s36, s60                                // 000000008D10: 85153C24
	s_mov_b64 exec, s[20:21]                                   // 000000008D14: BEFE0114
	global_atomic_add_f32 v6, v100, s[8:9]                     // 000000008D18: DD348000 00086406
	global_atomic_add_f32 v6, v104, s[8:9] offset:256          // 000000008D20: DD348100 00086806
	s_mov_b64 exec, s[36:37]                                   // 000000008D28: BEFE0124
	v_mov_b32_e32 v6, v69                                      // 000000008D2C: 7E0C0345
	s_mov_b64 s[60:61], 0                                      // 000000008D30: BEBC0180
	v_readlane_b32 s82, v3, 10                                 // 000000008D34: D2890052 00011503
	s_and_b32 s82, s82, 0xffffff                               // 000000008D3C: 8652FF52 00FFFFFF
	s_cmp_lt_u32 s82, s66                                      // 000000008D44: BF0A4252
	s_cselect_b32 s20, s36, s60                                // 000000008D48: 85143C24
	v_readlane_b32 s82, v3, 11                                 // 000000008D4C: D2890052 00011703
	s_and_b32 s82, s82, 0xffffff                               // 000000008D54: 8652FF52 00FFFFFF
	s_cmp_lt_u32 s82, s66                                      // 000000008D5C: BF0A4252
	s_cselect_b32 s21, s36, s60                                // 000000008D60: 85153C24
	s_mov_b64 exec, s[20:21]                                   // 000000008D64: BEFE0114
	global_atomic_add_f32 v6, v101, s[8:9]                     // 000000008D68: DD348000 00086506
	global_atomic_add_f32 v6, v105, s[8:9] offset:256          // 000000008D70: DD348100 00086906
	s_mov_b64 exec, s[36:37]                                   // 000000008D78: BEFE0124
	v_mov_b32_e32 v6, v70                                      // 000000008D7C: 7E0C0346
	s_mov_b64 s[60:61], 0                                      // 000000008D80: BEBC0180
	v_readlane_b32 s82, v3, 12                                 // 000000008D84: D2890052 00011903
	s_and_b32 s82, s82, 0xffffff                               // 000000008D8C: 8652FF52 00FFFFFF
	s_cmp_lt_u32 s82, s66                                      // 000000008D94: BF0A4252
	s_cselect_b32 s20, s36, s60                                // 000000008D98: 85143C24
	v_readlane_b32 s82, v3, 13                                 // 000000008D9C: D2890052 00011B03
	s_and_b32 s82, s82, 0xffffff                               // 000000008DA4: 8652FF52 00FFFFFF
	s_cmp_lt_u32 s82, s66                                      // 000000008DAC: BF0A4252
	s_cselect_b32 s21, s36, s60                                // 000000008DB0: 85153C24
	s_mov_b64 exec, s[20:21]                                   // 000000008DB4: BEFE0114
	global_atomic_add_f32 v6, v108, s[8:9]                     // 000000008DB8: DD348000 00086C06
	global_atomic_add_f32 v6, v112, s[8:9] offset:256          // 000000008DC0: DD348100 00087006
	s_mov_b64 exec, s[36:37]                                   // 000000008DC8: BEFE0124
	v_mov_b32_e32 v6, v71                                      // 000000008DCC: 7E0C0347
	s_mov_b64 s[60:61], 0                                      // 000000008DD0: BEBC0180
	v_readlane_b32 s82, v3, 14                                 // 000000008DD4: D2890052 00011D03
	s_and_b32 s82, s82, 0xffffff                               // 000000008DDC: 8652FF52 00FFFFFF
	s_cmp_lt_u32 s82, s66                                      // 000000008DE4: BF0A4252
	s_cselect_b32 s20, s36, s60                                // 000000008DE8: 85143C24
	v_readlane_b32 s82, v3, 15                                 // 000000008DEC: D2890052 00011F03
	s_and_b32 s82, s82, 0xffffff                               // 000000008DF4: 8652FF52 00FFFFFF
	s_cmp_lt_u32 s82, s66                                      // 000000008DFC: BF0A4252
	s_cselect_b32 s21, s36, s60                                // 000000008E00: 85153C24
	s_mov_b64 exec, s[20:21]                                   // 000000008E04: BEFE0114
	global_atomic_add_f32 v6, v109, s[8:9]                     // 000000008E08: DD348000 00086D06
	global_atomic_add_f32 v6, v113, s[8:9] offset:256          // 000000008E10: DD348100 00087106
	s_mov_b64 exec, s[36:37]                                   // 000000008E18: BEFE0124
	v_mov_b32_e32 v6, v72                                      // 000000008E1C: 7E0C0348
	s_mov_b64 s[60:61], 0                                      // 000000008E20: BEBC0180
	v_readlane_b32 s82, v3, 16                                 // 000000008E24: D2890052 00012103
	s_and_b32 s82, s82, 0xffffff                               // 000000008E2C: 8652FF52 00FFFFFF
	s_cmp_lt_u32 s82, s66                                      // 000000008E34: BF0A4252
	s_cselect_b32 s20, s36, s60                                // 000000008E38: 85143C24
	v_readlane_b32 s82, v3, 17                                 // 000000008E3C: D2890052 00012303
	s_and_b32 s82, s82, 0xffffff                               // 000000008E44: 8652FF52 00FFFFFF
	s_cmp_lt_u32 s82, s66                                      // 000000008E4C: BF0A4252
	s_cselect_b32 s21, s36, s60                                // 000000008E50: 85153C24
	s_mov_b64 exec, s[20:21]                                   // 000000008E54: BEFE0114
	global_atomic_add_f32 v6, v116, s[8:9]                     // 000000008E58: DD348000 00087406
	global_atomic_add_f32 v6, v120, s[8:9] offset:256          // 000000008E60: DD348100 00087806
	s_mov_b64 exec, s[36:37]                                   // 000000008E68: BEFE0124
	v_mov_b32_e32 v6, v73                                      // 000000008E6C: 7E0C0349
	s_mov_b64 s[60:61], 0                                      // 000000008E70: BEBC0180
	v_readlane_b32 s82, v3, 18                                 // 000000008E74: D2890052 00012503
	s_and_b32 s82, s82, 0xffffff                               // 000000008E7C: 8652FF52 00FFFFFF
	s_cmp_lt_u32 s82, s66                                      // 000000008E84: BF0A4252
	s_cselect_b32 s20, s36, s60                                // 000000008E88: 85143C24
	v_readlane_b32 s82, v3, 19                                 // 000000008E8C: D2890052 00012703
	s_and_b32 s82, s82, 0xffffff                               // 000000008E94: 8652FF52 00FFFFFF
	s_cmp_lt_u32 s82, s66                                      // 000000008E9C: BF0A4252
	s_cselect_b32 s21, s36, s60                                // 000000008EA0: 85153C24
	s_mov_b64 exec, s[20:21]                                   // 000000008EA4: BEFE0114
	global_atomic_add_f32 v6, v117, s[8:9]                     // 000000008EA8: DD348000 00087506
	global_atomic_add_f32 v6, v121, s[8:9] offset:256          // 000000008EB0: DD348100 00087906
	s_mov_b64 exec, s[36:37]                                   // 000000008EB8: BEFE0124
	v_mov_b32_e32 v6, v74                                      // 000000008EBC: 7E0C034A
	s_mov_b64 s[60:61], 0                                      // 000000008EC0: BEBC0180
	v_readlane_b32 s82, v3, 20                                 // 000000008EC4: D2890052 00012903
	s_and_b32 s82, s82, 0xffffff                               // 000000008ECC: 8652FF52 00FFFFFF
	s_cmp_lt_u32 s82, s66                                      // 000000008ED4: BF0A4252
	s_cselect_b32 s20, s36, s60                                // 000000008ED8: 85143C24
	v_readlane_b32 s82, v3, 21                                 // 000000008EDC: D2890052 00012B03
	s_and_b32 s82, s82, 0xffffff                               // 000000008EE4: 8652FF52 00FFFFFF
	s_cmp_lt_u32 s82, s66                                      // 000000008EEC: BF0A4252
	s_cselect_b32 s21, s36, s60                                // 000000008EF0: 85153C24
	s_mov_b64 exec, s[20:21]                                   // 000000008EF4: BEFE0114
	global_atomic_add_f32 v6, v124, s[8:9]                     // 000000008EF8: DD348000 00087C06
	global_atomic_add_f32 v6, v128, s[8:9] offset:256          // 000000008F00: DD348100 00088006
	s_mov_b64 exec, s[36:37]                                   // 000000008F08: BEFE0124
	v_mov_b32_e32 v6, v75                                      // 000000008F0C: 7E0C034B
	s_mov_b64 s[60:61], 0                                      // 000000008F10: BEBC0180
	v_readlane_b32 s82, v3, 22                                 // 000000008F14: D2890052 00012D03
	s_and_b32 s82, s82, 0xffffff                               // 000000008F1C: 8652FF52 00FFFFFF
	s_cmp_lt_u32 s82, s66                                      // 000000008F24: BF0A4252
	s_cselect_b32 s20, s36, s60                                // 000000008F28: 85143C24
	v_readlane_b32 s82, v3, 23                                 // 000000008F2C: D2890052 00012F03
	s_and_b32 s82, s82, 0xffffff                               // 000000008F34: 8652FF52 00FFFFFF
	s_cmp_lt_u32 s82, s66                                      // 000000008F3C: BF0A4252
	s_cselect_b32 s21, s36, s60                                // 000000008F40: 85153C24
	s_mov_b64 exec, s[20:21]                                   // 000000008F44: BEFE0114
	global_atomic_add_f32 v6, v125, s[8:9]                     // 000000008F48: DD348000 00087D06
	global_atomic_add_f32 v6, v129, s[8:9] offset:256          // 000000008F50: DD348100 00088106
	s_mov_b64 exec, s[36:37]                                   // 000000008F58: BEFE0124
	v_mov_b32_e32 v6, v76                                      // 000000008F5C: 7E0C034C
	s_mov_b64 s[60:61], 0                                      // 000000008F60: BEBC0180
	v_readlane_b32 s82, v3, 24                                 // 000000008F64: D2890052 00013103
	s_and_b32 s82, s82, 0xffffff                               // 000000008F6C: 8652FF52 00FFFFFF
	s_cmp_lt_u32 s82, s66                                      // 000000008F74: BF0A4252
	s_cselect_b32 s20, s36, s60                                // 000000008F78: 85143C24
	v_readlane_b32 s82, v3, 25                                 // 000000008F7C: D2890052 00013303
	s_and_b32 s82, s82, 0xffffff                               // 000000008F84: 8652FF52 00FFFFFF
	s_cmp_lt_u32 s82, s66                                      // 000000008F8C: BF0A4252
	s_cselect_b32 s21, s36, s60                                // 000000008F90: 85153C24
	s_mov_b64 exec, s[20:21]                                   // 000000008F94: BEFE0114
	global_atomic_add_f32 v6, v132, s[8:9]                     // 000000008F98: DD348000 00088406
	global_atomic_add_f32 v6, v136, s[8:9] offset:256          // 000000008FA0: DD348100 00088806
	s_mov_b64 exec, s[36:37]                                   // 000000008FA8: BEFE0124
	v_mov_b32_e32 v6, v77                                      // 000000008FAC: 7E0C034D
	s_mov_b64 s[60:61], 0                                      // 000000008FB0: BEBC0180
	v_readlane_b32 s82, v3, 26                                 // 000000008FB4: D2890052 00013503
	s_and_b32 s82, s82, 0xffffff                               // 000000008FBC: 8652FF52 00FFFFFF
	s_cmp_lt_u32 s82, s66                                      // 000000008FC4: BF0A4252
	s_cselect_b32 s20, s36, s60                                // 000000008FC8: 85143C24
	v_readlane_b32 s82, v3, 27                                 // 000000008FCC: D2890052 00013703
	s_and_b32 s82, s82, 0xffffff                               // 000000008FD4: 8652FF52 00FFFFFF
	s_cmp_lt_u32 s82, s66                                      // 000000008FDC: BF0A4252
	s_cselect_b32 s21, s36, s60                                // 000000008FE0: 85153C24
	s_mov_b64 exec, s[20:21]                                   // 000000008FE4: BEFE0114
	global_atomic_add_f32 v6, v133, s[8:9]                     // 000000008FE8: DD348000 00088506
	global_atomic_add_f32 v6, v137, s[8:9] offset:256          // 000000008FF0: DD348100 00088906
	s_mov_b64 exec, s[36:37]                                   // 000000008FF8: BEFE0124
	v_mov_b32_e32 v6, v78                                      // 000000008FFC: 7E0C034E
	s_mov_b64 s[60:61], 0                                      // 000000009000: BEBC0180
	v_readlane_b32 s82, v3, 28                                 // 000000009004: D2890052 00013903
	s_and_b32 s82, s82, 0xffffff                               // 00000000900C: 8652FF52 00FFFFFF
	s_cmp_lt_u32 s82, s66                                      // 000000009014: BF0A4252
	s_cselect_b32 s20, s36, s60                                // 000000009018: 85143C24
	v_readlane_b32 s82, v3, 29                                 // 00000000901C: D2890052 00013B03
	s_and_b32 s82, s82, 0xffffff                               // 000000009024: 8652FF52 00FFFFFF
	s_cmp_lt_u32 s82, s66                                      // 00000000902C: BF0A4252
	s_cselect_b32 s21, s36, s60                                // 000000009030: 85153C24
	s_mov_b64 exec, s[20:21]                                   // 000000009034: BEFE0114
	global_atomic_add_f32 v6, v140, s[8:9]                     // 000000009038: DD348000 00088C06
	global_atomic_add_f32 v6, v144, s[8:9] offset:256          // 000000009040: DD348100 00089006
	s_mov_b64 exec, s[36:37]                                   // 000000009048: BEFE0124
	v_mov_b32_e32 v6, v79                                      // 00000000904C: 7E0C034F
	s_mov_b64 s[60:61], 0                                      // 000000009050: BEBC0180
	v_readlane_b32 s82, v3, 30                                 // 000000009054: D2890052 00013D03
	s_and_b32 s82, s82, 0xffffff                               // 00000000905C: 8652FF52 00FFFFFF
	s_cmp_lt_u32 s82, s66                                      // 000000009064: BF0A4252
	s_cselect_b32 s20, s36, s60                                // 000000009068: 85143C24
	v_readlane_b32 s82, v3, 31                                 // 00000000906C: D2890052 00013F03
	s_and_b32 s82, s82, 0xffffff                               // 000000009074: 8652FF52 00FFFFFF
	s_cmp_lt_u32 s82, s66                                      // 00000000907C: BF0A4252
	s_cselect_b32 s21, s36, s60                                // 000000009080: 85153C24
	s_mov_b64 exec, s[20:21]                                   // 000000009084: BEFE0114
	global_atomic_add_f32 v6, v141, s[8:9]                     // 000000009088: DD348000 00088D06
	global_atomic_add_f32 v6, v145, s[8:9] offset:256          // 000000009090: DD348100 00089106
	s_mov_b64 exec, s[36:37]                                   // 000000009098: BEFE0124
	v_mov_b32_e32 v6, v80                                      // 00000000909C: 7E0C0350
	s_mov_b64 s[60:61], 0                                      // 0000000090A0: BEBC0180
	v_readlane_b32 s82, v3, 32                                 // 0000000090A4: D2890052 00014103
	s_and_b32 s82, s82, 0xffffff                               // 0000000090AC: 8652FF52 00FFFFFF
	s_cmp_lt_u32 s82, s66                                      // 0000000090B4: BF0A4252
	s_cselect_b32 s20, s36, s60                                // 0000000090B8: 85143C24
	v_readlane_b32 s82, v3, 33                                 // 0000000090BC: D2890052 00014303
	s_and_b32 s82, s82, 0xffffff                               // 0000000090C4: 8652FF52 00FFFFFF
	s_cmp_lt_u32 s82, s66                                      // 0000000090CC: BF0A4252
	s_cselect_b32 s21, s36, s60                                // 0000000090D0: 85153C24
	s_mov_b64 exec, s[20:21]                                   // 0000000090D4: BEFE0114
	global_atomic_add_f32 v6, v148, s[8:9]                     // 0000000090D8: DD348000 00089406
	global_atomic_add_f32 v6, v152, s[8:9] offset:256          // 0000000090E0: DD348100 00089806
	s_mov_b64 exec, s[36:37]                                   // 0000000090E8: BEFE0124
	v_mov_b32_e32 v6, v81                                      // 0000000090EC: 7E0C0351
	s_mov_b64 s[60:61], 0                                      // 0000000090F0: BEBC0180
	v_readlane_b32 s82, v3, 34                                 // 0000000090F4: D2890052 00014503
	s_and_b32 s82, s82, 0xffffff                               // 0000000090FC: 8652FF52 00FFFFFF
	s_cmp_lt_u32 s82, s66                                      // 000000009104: BF0A4252
	s_cselect_b32 s20, s36, s60                                // 000000009108: 85143C24
	v_readlane_b32 s82, v3, 35                                 // 00000000910C: D2890052 00014703
	s_and_b32 s82, s82, 0xffffff                               // 000000009114: 8652FF52 00FFFFFF
	s_cmp_lt_u32 s82, s66                                      // 00000000911C: BF0A4252
	s_cselect_b32 s21, s36, s60                                // 000000009120: 85153C24
	s_mov_b64 exec, s[20:21]                                   // 000000009124: BEFE0114
	global_atomic_add_f32 v6, v149, s[8:9]                     // 000000009128: DD348000 00089506
	global_atomic_add_f32 v6, v153, s[8:9] offset:256          // 000000009130: DD348100 00089906
	s_mov_b64 exec, s[36:37]                                   // 000000009138: BEFE0124
	ds_write_b64 v20, v[86:87]                                 // 00000000913C: D89A0000 00005614
	ds_write_b64 v20, v[90:91] offset:4352                     // 000000009144: D89A1100 00005A14
	ds_write_b64 v20, v[94:95] offset:8704                     // 00000000914C: D89A2200 00005E14
	ds_write_b64 v20, v[98:99] offset:13056                    // 000000009154: D89A3300 00006214
	ds_write_b64 v20, v[102:103] offset:17408                  // 00000000915C: D89A4400 00006614
	ds_write_b64 v20, v[106:107] offset:21760                  // 000000009164: D89A5500 00006A14
	ds_write_b64 v20, v[110:111] offset:26112                  // 00000000916C: D89A6600 00006E14
	ds_write_b64 v20, v[114:115] offset:30464                  // 000000009174: D89A7700 00007214
	ds_write_b64 v20, v[118:119] offset:34816                  // 00000000917C: D89A8800 00007614
	ds_write_b64 v20, v[122:123] offset:2176                   // 000000009184: D89A0880 00007A14
	ds_write_b64 v20, v[126:127] offset:6528                   // 00000000918C: D89A1980 00007E14
	ds_write_b64 v20, v[130:131] offset:10880                  // 000000009194: D89A2A80 00008214
	ds_write_b64 v20, v[134:135] offset:15232                  // 00000000919C: D89A3B80 00008614
	ds_write_b64 v20, v[138:139] offset:19584                  // 0000000091A4: D89A4C80 00008A14
	ds_write_b64 v20, v[142:143] offset:23936                  // 0000000091AC: D89A5D80 00008E14
	ds_write_b64 v20, v[146:147] offset:28288                  // 0000000091B4: D89A6E80 00009214
	ds_write_b64 v20, v[150:151] offset:32640                  // 0000000091BC: D89A7F80 00009614
	ds_write_b64 v20, v[154:155] offset:36992                  // 0000000091C4: D89A9080 00009A14
	s_waitcnt lgkmcnt(0)                                       // 0000000091CC: BF8CC07F
	s_barrier                                                  // 0000000091D0: BF8A0000
	ds_read_b32 v86, v21                                       // 0000000091D4: D86C0000 56000015
	ds_read_b32 v87, v21 offset:64                             // 0000000091DC: D86C0040 57000015
	ds_read_b32 v90, v21 offset:2176                           // 0000000091E4: D86C0880 5A000015
	ds_read_b32 v91, v21 offset:2240                           // 0000000091EC: D86C08C0 5B000015
	ds_read_b32 v94, v21 offset:4352                           // 0000000091F4: D86C1100 5E000015
	ds_read_b32 v95, v21 offset:4416                           // 0000000091FC: D86C1140 5F000015
	ds_read_b32 v98, v21 offset:6528                           // 000000009204: D86C1980 62000015
	ds_read_b32 v99, v21 offset:6592                           // 00000000920C: D86C19C0 63000015
	ds_read_b32 v102, v21 offset:8704                          // 000000009214: D86C2200 66000015
	ds_read_b32 v103, v21 offset:8768                          // 00000000921C: D86C2240 67000015
	ds_read_b32 v106, v21 offset:10880                         // 000000009224: D86C2A80 6A000015
	ds_read_b32 v107, v21 offset:10944                         // 00000000922C: D86C2AC0 6B000015
	ds_read_b32 v110, v21 offset:13056                         // 000000009234: D86C3300 6E000015
	ds_read_b32 v111, v21 offset:13120                         // 00000000923C: D86C3340 6F000015
	ds_read_b32 v114, v21 offset:15232                         // 000000009244: D86C3B80 72000015
	ds_read_b32 v115, v21 offset:15296                         // 00000000924C: D86C3BC0 73000015
	ds_read_b32 v118, v21 offset:17408                         // 000000009254: D86C4400 76000015
	ds_read_b32 v119, v21 offset:17472                         // 00000000925C: D86C4440 77000015
	ds_read_b32 v122, v21 offset:19584                         // 000000009264: D86C4C80 7A000015
	ds_read_b32 v123, v21 offset:19648                         // 00000000926C: D86C4CC0 7B000015
	ds_read_b32 v126, v21 offset:21760                         // 000000009274: D86C5500 7E000015
	ds_read_b32 v127, v21 offset:21824                         // 00000000927C: D86C5540 7F000015
	ds_read_b32 v130, v21 offset:23936                         // 000000009284: D86C5D80 82000015
	ds_read_b32 v131, v21 offset:24000                         // 00000000928C: D86C5DC0 83000015
	ds_read_b32 v134, v21 offset:26112                         // 000000009294: D86C6600 86000015
	ds_read_b32 v135, v21 offset:26176                         // 00000000929C: D86C6640 87000015
	ds_read_b32 v138, v21 offset:28288                         // 0000000092A4: D86C6E80 8A000015
	ds_read_b32 v139, v21 offset:28352                         // 0000000092AC: D86C6EC0 8B000015
	ds_read_b32 v142, v21 offset:30464                         // 0000000092B4: D86C7700 8E000015
	ds_read_b32 v143, v21 offset:30528                         // 0000000092BC: D86C7740 8F000015
	ds_read_b32 v146, v21 offset:32640                         // 0000000092C4: D86C7F80 92000015
	ds_read_b32 v147, v21 offset:32704                         // 0000000092CC: D86C7FC0 93000015
	ds_read_b32 v150, v21 offset:34816                         // 0000000092D4: D86C8800 96000015
	ds_read_b32 v151, v21 offset:34880                         // 0000000092DC: D86C8840 97000015
	ds_read_b32 v154, v21 offset:36992                         // 0000000092E4: D86C9080 9A000015
	ds_read_b32 v155, v21 offset:37056                         // 0000000092EC: D86C90C0 9B000015
	s_waitcnt lgkmcnt(0)                                       // 0000000092F4: BF8CC07F
	v_mov_b32_e32 v7, 0                                        // 0000000092F8: 7E0E0280
	s_mov_b64 exec, s[36:37]                                   // 0000000092FC: BEFE0124
	v_mov_b32_e32 v6, v64                                      // 000000009300: 7E0C0340
	s_mov_b64 s[60:61], 0                                      // 000000009304: BEBC0180
	v_readlane_b32 s82, v3, 0                                  // 000000009308: D2890052 00010103
	s_and_b32 s82, s82, 0xffffff                               // 000000009310: 8652FF52 00FFFFFF
	s_cmp_lt_u32 s82, s66                                      // 000000009318: BF0A4252
	s_cselect_b32 s20, s36, s60                                // 00000000931C: 85143C24
	v_readlane_b32 s82, v3, 1                                  // 000000009320: D2890052 00010303
	s_and_b32 s82, s82, 0xffffff                               // 000000009328: 8652FF52 00FFFFFF
	s_cmp_lt_u32 s82, s66                                      // 000000009330: BF0A4252
	s_cselect_b32 s21, s36, s60                                // 000000009334: 85153C24
	s_mov_b64 exec, s[20:21]                                   // 000000009338: BEFE0114
	global_atomic_add_f32 v6, v86, s[8:9] offset:8             // 00000000933C: DD348008 00085606
	global_atomic_add_f32 v6, v90, s[8:9] offset:264           // 000000009344: DD348108 00085A06
	s_mov_b64 exec, s[36:37]                                   // 00000000934C: BEFE0124
	v_mov_b32_e32 v6, v65                                      // 000000009350: 7E0C0341
	s_mov_b64 s[60:61], 0                                      // 000000009354: BEBC0180
	v_readlane_b32 s82, v3, 2                                  // 000000009358: D2890052 00010503
	s_and_b32 s82, s82, 0xffffff                               // 000000009360: 8652FF52 00FFFFFF
	s_cmp_lt_u32 s82, s66                                      // 000000009368: BF0A4252
	s_cselect_b32 s20, s36, s60                                // 00000000936C: 85143C24
	v_readlane_b32 s82, v3, 3                                  // 000000009370: D2890052 00010703
	s_and_b32 s82, s82, 0xffffff                               // 000000009378: 8652FF52 00FFFFFF
	s_cmp_lt_u32 s82, s66                                      // 000000009380: BF0A4252
	s_cselect_b32 s21, s36, s60                                // 000000009384: 85153C24
	s_mov_b64 exec, s[20:21]                                   // 000000009388: BEFE0114
	global_atomic_add_f32 v6, v87, s[8:9] offset:8             // 00000000938C: DD348008 00085706
	global_atomic_add_f32 v6, v91, s[8:9] offset:264           // 000000009394: DD348108 00085B06
	s_mov_b64 exec, s[36:37]                                   // 00000000939C: BEFE0124
	v_mov_b32_e32 v6, v66                                      // 0000000093A0: 7E0C0342
	s_mov_b64 s[60:61], 0                                      // 0000000093A4: BEBC0180
	v_readlane_b32 s82, v3, 4                                  // 0000000093A8: D2890052 00010903
	s_and_b32 s82, s82, 0xffffff                               // 0000000093B0: 8652FF52 00FFFFFF
	s_cmp_lt_u32 s82, s66                                      // 0000000093B8: BF0A4252
	s_cselect_b32 s20, s36, s60                                // 0000000093BC: 85143C24
	v_readlane_b32 s82, v3, 5                                  // 0000000093C0: D2890052 00010B03
	s_and_b32 s82, s82, 0xffffff                               // 0000000093C8: 8652FF52 00FFFFFF
	s_cmp_lt_u32 s82, s66                                      // 0000000093D0: BF0A4252
	s_cselect_b32 s21, s36, s60                                // 0000000093D4: 85153C24
	s_mov_b64 exec, s[20:21]                                   // 0000000093D8: BEFE0114
	global_atomic_add_f32 v6, v94, s[8:9] offset:8             // 0000000093DC: DD348008 00085E06
	global_atomic_add_f32 v6, v98, s[8:9] offset:264           // 0000000093E4: DD348108 00086206
	s_mov_b64 exec, s[36:37]                                   // 0000000093EC: BEFE0124
	v_mov_b32_e32 v6, v67                                      // 0000000093F0: 7E0C0343
	s_mov_b64 s[60:61], 0                                      // 0000000093F4: BEBC0180
	v_readlane_b32 s82, v3, 6                                  // 0000000093F8: D2890052 00010D03
	s_and_b32 s82, s82, 0xffffff                               // 000000009400: 8652FF52 00FFFFFF
	s_cmp_lt_u32 s82, s66                                      // 000000009408: BF0A4252
	s_cselect_b32 s20, s36, s60                                // 00000000940C: 85143C24
	v_readlane_b32 s82, v3, 7                                  // 000000009410: D2890052 00010F03
	s_and_b32 s82, s82, 0xffffff                               // 000000009418: 8652FF52 00FFFFFF
	s_cmp_lt_u32 s82, s66                                      // 000000009420: BF0A4252
	s_cselect_b32 s21, s36, s60                                // 000000009424: 85153C24
	s_mov_b64 exec, s[20:21]                                   // 000000009428: BEFE0114
	global_atomic_add_f32 v6, v95, s[8:9] offset:8             // 00000000942C: DD348008 00085F06
	global_atomic_add_f32 v6, v99, s[8:9] offset:264           // 000000009434: DD348108 00086306
	s_mov_b64 exec, s[36:37]                                   // 00000000943C: BEFE0124
	v_mov_b32_e32 v6, v68                                      // 000000009440: 7E0C0344
	s_mov_b64 s[60:61], 0                                      // 000000009444: BEBC0180
	v_readlane_b32 s82, v3, 8                                  // 000000009448: D2890052 00011103
	s_and_b32 s82, s82, 0xffffff                               // 000000009450: 8652FF52 00FFFFFF
	s_cmp_lt_u32 s82, s66                                      // 000000009458: BF0A4252
	s_cselect_b32 s20, s36, s60                                // 00000000945C: 85143C24
	v_readlane_b32 s82, v3, 9                                  // 000000009460: D2890052 00011303
	s_and_b32 s82, s82, 0xffffff                               // 000000009468: 8652FF52 00FFFFFF
	s_cmp_lt_u32 s82, s66                                      // 000000009470: BF0A4252
	s_cselect_b32 s21, s36, s60                                // 000000009474: 85153C24
	s_mov_b64 exec, s[20:21]                                   // 000000009478: BEFE0114
	global_atomic_add_f32 v6, v102, s[8:9] offset:8            // 00000000947C: DD348008 00086606
	global_atomic_add_f32 v6, v106, s[8:9] offset:264          // 000000009484: DD348108 00086A06
	s_mov_b64 exec, s[36:37]                                   // 00000000948C: BEFE0124
	v_mov_b32_e32 v6, v69                                      // 000000009490: 7E0C0345
	s_mov_b64 s[60:61], 0                                      // 000000009494: BEBC0180
	v_readlane_b32 s82, v3, 10                                 // 000000009498: D2890052 00011503
	s_and_b32 s82, s82, 0xffffff                               // 0000000094A0: 8652FF52 00FFFFFF
	s_cmp_lt_u32 s82, s66                                      // 0000000094A8: BF0A4252
	s_cselect_b32 s20, s36, s60                                // 0000000094AC: 85143C24
	v_readlane_b32 s82, v3, 11                                 // 0000000094B0: D2890052 00011703
	s_and_b32 s82, s82, 0xffffff                               // 0000000094B8: 8652FF52 00FFFFFF
	s_cmp_lt_u32 s82, s66                                      // 0000000094C0: BF0A4252
	s_cselect_b32 s21, s36, s60                                // 0000000094C4: 85153C24
	s_mov_b64 exec, s[20:21]                                   // 0000000094C8: BEFE0114
	global_atomic_add_f32 v6, v103, s[8:9] offset:8            // 0000000094CC: DD348008 00086706
	global_atomic_add_f32 v6, v107, s[8:9] offset:264          // 0000000094D4: DD348108 00086B06
	s_mov_b64 exec, s[36:37]                                   // 0000000094DC: BEFE0124
	v_mov_b32_e32 v6, v70                                      // 0000000094E0: 7E0C0346
	s_mov_b64 s[60:61], 0                                      // 0000000094E4: BEBC0180
	v_readlane_b32 s82, v3, 12                                 // 0000000094E8: D2890052 00011903
	s_and_b32 s82, s82, 0xffffff                               // 0000000094F0: 8652FF52 00FFFFFF
	s_cmp_lt_u32 s82, s66                                      // 0000000094F8: BF0A4252
	s_cselect_b32 s20, s36, s60                                // 0000000094FC: 85143C24
	v_readlane_b32 s82, v3, 13                                 // 000000009500: D2890052 00011B03
	s_and_b32 s82, s82, 0xffffff                               // 000000009508: 8652FF52 00FFFFFF
	s_cmp_lt_u32 s82, s66                                      // 000000009510: BF0A4252
	s_cselect_b32 s21, s36, s60                                // 000000009514: 85153C24
	s_mov_b64 exec, s[20:21]                                   // 000000009518: BEFE0114
	global_atomic_add_f32 v6, v110, s[8:9] offset:8            // 00000000951C: DD348008 00086E06
	global_atomic_add_f32 v6, v114, s[8:9] offset:264          // 000000009524: DD348108 00087206
	s_mov_b64 exec, s[36:37]                                   // 00000000952C: BEFE0124
	v_mov_b32_e32 v6, v71                                      // 000000009530: 7E0C0347
	s_mov_b64 s[60:61], 0                                      // 000000009534: BEBC0180
	v_readlane_b32 s82, v3, 14                                 // 000000009538: D2890052 00011D03
	s_and_b32 s82, s82, 0xffffff                               // 000000009540: 8652FF52 00FFFFFF
	s_cmp_lt_u32 s82, s66                                      // 000000009548: BF0A4252
	s_cselect_b32 s20, s36, s60                                // 00000000954C: 85143C24
	v_readlane_b32 s82, v3, 15                                 // 000000009550: D2890052 00011F03
	s_and_b32 s82, s82, 0xffffff                               // 000000009558: 8652FF52 00FFFFFF
	s_cmp_lt_u32 s82, s66                                      // 000000009560: BF0A4252
	s_cselect_b32 s21, s36, s60                                // 000000009564: 85153C24
	s_mov_b64 exec, s[20:21]                                   // 000000009568: BEFE0114
	global_atomic_add_f32 v6, v111, s[8:9] offset:8            // 00000000956C: DD348008 00086F06
	global_atomic_add_f32 v6, v115, s[8:9] offset:264          // 000000009574: DD348108 00087306
	s_mov_b64 exec, s[36:37]                                   // 00000000957C: BEFE0124
	v_mov_b32_e32 v6, v72                                      // 000000009580: 7E0C0348
	s_mov_b64 s[60:61], 0                                      // 000000009584: BEBC0180
	v_readlane_b32 s82, v3, 16                                 // 000000009588: D2890052 00012103
	s_and_b32 s82, s82, 0xffffff                               // 000000009590: 8652FF52 00FFFFFF
	s_cmp_lt_u32 s82, s66                                      // 000000009598: BF0A4252
	s_cselect_b32 s20, s36, s60                                // 00000000959C: 85143C24
	v_readlane_b32 s82, v3, 17                                 // 0000000095A0: D2890052 00012303
	s_and_b32 s82, s82, 0xffffff                               // 0000000095A8: 8652FF52 00FFFFFF
	s_cmp_lt_u32 s82, s66                                      // 0000000095B0: BF0A4252
	s_cselect_b32 s21, s36, s60                                // 0000000095B4: 85153C24
	s_mov_b64 exec, s[20:21]                                   // 0000000095B8: BEFE0114
	global_atomic_add_f32 v6, v118, s[8:9] offset:8            // 0000000095BC: DD348008 00087606
	global_atomic_add_f32 v6, v122, s[8:9] offset:264          // 0000000095C4: DD348108 00087A06
	s_mov_b64 exec, s[36:37]                                   // 0000000095CC: BEFE0124
	v_mov_b32_e32 v6, v73                                      // 0000000095D0: 7E0C0349
	s_mov_b64 s[60:61], 0                                      // 0000000095D4: BEBC0180
	v_readlane_b32 s82, v3, 18                                 // 0000000095D8: D2890052 00012503
	s_and_b32 s82, s82, 0xffffff                               // 0000000095E0: 8652FF52 00FFFFFF
	s_cmp_lt_u32 s82, s66                                      // 0000000095E8: BF0A4252
	s_cselect_b32 s20, s36, s60                                // 0000000095EC: 85143C24
	v_readlane_b32 s82, v3, 19                                 // 0000000095F0: D2890052 00012703
	s_and_b32 s82, s82, 0xffffff                               // 0000000095F8: 8652FF52 00FFFFFF
	s_cmp_lt_u32 s82, s66                                      // 000000009600: BF0A4252
	s_cselect_b32 s21, s36, s60                                // 000000009604: 85153C24
	s_mov_b64 exec, s[20:21]                                   // 000000009608: BEFE0114
	global_atomic_add_f32 v6, v119, s[8:9] offset:8            // 00000000960C: DD348008 00087706
	global_atomic_add_f32 v6, v123, s[8:9] offset:264          // 000000009614: DD348108 00087B06
	s_mov_b64 exec, s[36:37]                                   // 00000000961C: BEFE0124
	v_mov_b32_e32 v6, v74                                      // 000000009620: 7E0C034A
	s_mov_b64 s[60:61], 0                                      // 000000009624: BEBC0180
	v_readlane_b32 s82, v3, 20                                 // 000000009628: D2890052 00012903
	s_and_b32 s82, s82, 0xffffff                               // 000000009630: 8652FF52 00FFFFFF
	s_cmp_lt_u32 s82, s66                                      // 000000009638: BF0A4252
	s_cselect_b32 s20, s36, s60                                // 00000000963C: 85143C24
	v_readlane_b32 s82, v3, 21                                 // 000000009640: D2890052 00012B03
	s_and_b32 s82, s82, 0xffffff                               // 000000009648: 8652FF52 00FFFFFF
	s_cmp_lt_u32 s82, s66                                      // 000000009650: BF0A4252
	s_cselect_b32 s21, s36, s60                                // 000000009654: 85153C24
	s_mov_b64 exec, s[20:21]                                   // 000000009658: BEFE0114
	global_atomic_add_f32 v6, v126, s[8:9] offset:8            // 00000000965C: DD348008 00087E06
	global_atomic_add_f32 v6, v130, s[8:9] offset:264          // 000000009664: DD348108 00088206
	s_mov_b64 exec, s[36:37]                                   // 00000000966C: BEFE0124
	v_mov_b32_e32 v6, v75                                      // 000000009670: 7E0C034B
	s_mov_b64 s[60:61], 0                                      // 000000009674: BEBC0180
	v_readlane_b32 s82, v3, 22                                 // 000000009678: D2890052 00012D03
	s_and_b32 s82, s82, 0xffffff                               // 000000009680: 8652FF52 00FFFFFF
	s_cmp_lt_u32 s82, s66                                      // 000000009688: BF0A4252
	s_cselect_b32 s20, s36, s60                                // 00000000968C: 85143C24
	v_readlane_b32 s82, v3, 23                                 // 000000009690: D2890052 00012F03
	s_and_b32 s82, s82, 0xffffff                               // 000000009698: 8652FF52 00FFFFFF
	s_cmp_lt_u32 s82, s66                                      // 0000000096A0: BF0A4252
	s_cselect_b32 s21, s36, s60                                // 0000000096A4: 85153C24
	s_mov_b64 exec, s[20:21]                                   // 0000000096A8: BEFE0114
	global_atomic_add_f32 v6, v127, s[8:9] offset:8            // 0000000096AC: DD348008 00087F06
	global_atomic_add_f32 v6, v131, s[8:9] offset:264          // 0000000096B4: DD348108 00088306
	s_mov_b64 exec, s[36:37]                                   // 0000000096BC: BEFE0124
	v_mov_b32_e32 v6, v76                                      // 0000000096C0: 7E0C034C
	s_mov_b64 s[60:61], 0                                      // 0000000096C4: BEBC0180
	v_readlane_b32 s82, v3, 24                                 // 0000000096C8: D2890052 00013103
	s_and_b32 s82, s82, 0xffffff                               // 0000000096D0: 8652FF52 00FFFFFF
	s_cmp_lt_u32 s82, s66                                      // 0000000096D8: BF0A4252
	s_cselect_b32 s20, s36, s60                                // 0000000096DC: 85143C24
	v_readlane_b32 s82, v3, 25                                 // 0000000096E0: D2890052 00013303
	s_and_b32 s82, s82, 0xffffff                               // 0000000096E8: 8652FF52 00FFFFFF
	s_cmp_lt_u32 s82, s66                                      // 0000000096F0: BF0A4252
	s_cselect_b32 s21, s36, s60                                // 0000000096F4: 85153C24
	s_mov_b64 exec, s[20:21]                                   // 0000000096F8: BEFE0114
	global_atomic_add_f32 v6, v134, s[8:9] offset:8            // 0000000096FC: DD348008 00088606
	global_atomic_add_f32 v6, v138, s[8:9] offset:264          // 000000009704: DD348108 00088A06
	s_mov_b64 exec, s[36:37]                                   // 00000000970C: BEFE0124
	v_mov_b32_e32 v6, v77                                      // 000000009710: 7E0C034D
	s_mov_b64 s[60:61], 0                                      // 000000009714: BEBC0180
	v_readlane_b32 s82, v3, 26                                 // 000000009718: D2890052 00013503
	s_and_b32 s82, s82, 0xffffff                               // 000000009720: 8652FF52 00FFFFFF
	s_cmp_lt_u32 s82, s66                                      // 000000009728: BF0A4252
	s_cselect_b32 s20, s36, s60                                // 00000000972C: 85143C24
	v_readlane_b32 s82, v3, 27                                 // 000000009730: D2890052 00013703
	s_and_b32 s82, s82, 0xffffff                               // 000000009738: 8652FF52 00FFFFFF
	s_cmp_lt_u32 s82, s66                                      // 000000009740: BF0A4252
	s_cselect_b32 s21, s36, s60                                // 000000009744: 85153C24
	s_mov_b64 exec, s[20:21]                                   // 000000009748: BEFE0114
	global_atomic_add_f32 v6, v135, s[8:9] offset:8            // 00000000974C: DD348008 00088706
	global_atomic_add_f32 v6, v139, s[8:9] offset:264          // 000000009754: DD348108 00088B06
	s_mov_b64 exec, s[36:37]                                   // 00000000975C: BEFE0124
	v_mov_b32_e32 v6, v78                                      // 000000009760: 7E0C034E
	s_mov_b64 s[60:61], 0                                      // 000000009764: BEBC0180
	v_readlane_b32 s82, v3, 28                                 // 000000009768: D2890052 00013903
	s_and_b32 s82, s82, 0xffffff                               // 000000009770: 8652FF52 00FFFFFF
	s_cmp_lt_u32 s82, s66                                      // 000000009778: BF0A4252
	s_cselect_b32 s20, s36, s60                                // 00000000977C: 85143C24
	v_readlane_b32 s82, v3, 29                                 // 000000009780: D2890052 00013B03
	s_and_b32 s82, s82, 0xffffff                               // 000000009788: 8652FF52 00FFFFFF
	s_cmp_lt_u32 s82, s66                                      // 000000009790: BF0A4252
	s_cselect_b32 s21, s36, s60                                // 000000009794: 85153C24
	s_mov_b64 exec, s[20:21]                                   // 000000009798: BEFE0114
	global_atomic_add_f32 v6, v142, s[8:9] offset:8            // 00000000979C: DD348008 00088E06
	global_atomic_add_f32 v6, v146, s[8:9] offset:264          // 0000000097A4: DD348108 00089206
	s_mov_b64 exec, s[36:37]                                   // 0000000097AC: BEFE0124
	v_mov_b32_e32 v6, v79                                      // 0000000097B0: 7E0C034F
	s_mov_b64 s[60:61], 0                                      // 0000000097B4: BEBC0180
	v_readlane_b32 s82, v3, 30                                 // 0000000097B8: D2890052 00013D03
	s_and_b32 s82, s82, 0xffffff                               // 0000000097C0: 8652FF52 00FFFFFF
	s_cmp_lt_u32 s82, s66                                      // 0000000097C8: BF0A4252
	s_cselect_b32 s20, s36, s60                                // 0000000097CC: 85143C24
	v_readlane_b32 s82, v3, 31                                 // 0000000097D0: D2890052 00013F03
	s_and_b32 s82, s82, 0xffffff                               // 0000000097D8: 8652FF52 00FFFFFF
	s_cmp_lt_u32 s82, s66                                      // 0000000097E0: BF0A4252
	s_cselect_b32 s21, s36, s60                                // 0000000097E4: 85153C24
	s_mov_b64 exec, s[20:21]                                   // 0000000097E8: BEFE0114
	global_atomic_add_f32 v6, v143, s[8:9] offset:8            // 0000000097EC: DD348008 00088F06
	global_atomic_add_f32 v6, v147, s[8:9] offset:264          // 0000000097F4: DD348108 00089306
	s_mov_b64 exec, s[36:37]                                   // 0000000097FC: BEFE0124
	v_mov_b32_e32 v6, v80                                      // 000000009800: 7E0C0350
	s_mov_b64 s[60:61], 0                                      // 000000009804: BEBC0180
	v_readlane_b32 s82, v3, 32                                 // 000000009808: D2890052 00014103
	s_and_b32 s82, s82, 0xffffff                               // 000000009810: 8652FF52 00FFFFFF
	s_cmp_lt_u32 s82, s66                                      // 000000009818: BF0A4252
	s_cselect_b32 s20, s36, s60                                // 00000000981C: 85143C24
	v_readlane_b32 s82, v3, 33                                 // 000000009820: D2890052 00014303
	s_and_b32 s82, s82, 0xffffff                               // 000000009828: 8652FF52 00FFFFFF
	s_cmp_lt_u32 s82, s66                                      // 000000009830: BF0A4252
	s_cselect_b32 s21, s36, s60                                // 000000009834: 85153C24
	s_mov_b64 exec, s[20:21]                                   // 000000009838: BEFE0114
	global_atomic_add_f32 v6, v150, s[8:9] offset:8            // 00000000983C: DD348008 00089606
	global_atomic_add_f32 v6, v154, s[8:9] offset:264          // 000000009844: DD348108 00089A06
	s_mov_b64 exec, s[36:37]                                   // 00000000984C: BEFE0124
	v_mov_b32_e32 v6, v81                                      // 000000009850: 7E0C0351
	s_mov_b64 s[60:61], 0                                      // 000000009854: BEBC0180
	v_readlane_b32 s82, v3, 34                                 // 000000009858: D2890052 00014503
	s_and_b32 s82, s82, 0xffffff                               // 000000009860: 8652FF52 00FFFFFF
	s_cmp_lt_u32 s82, s66                                      // 000000009868: BF0A4252
	s_cselect_b32 s20, s36, s60                                // 00000000986C: 85143C24
	v_readlane_b32 s82, v3, 35                                 // 000000009870: D2890052 00014703
	s_and_b32 s82, s82, 0xffffff                               // 000000009878: 8652FF52 00FFFFFF
	s_cmp_lt_u32 s82, s66                                      // 000000009880: BF0A4252
	s_cselect_b32 s21, s36, s60                                // 000000009884: 85153C24
	s_mov_b64 exec, s[20:21]                                   // 000000009888: BEFE0114
	global_atomic_add_f32 v6, v151, s[8:9] offset:8            // 00000000988C: DD348008 00089706
	global_atomic_add_f32 v6, v155, s[8:9] offset:264          // 000000009894: DD348108 00089B06
	s_mov_b64 exec, s[36:37]                                   // 00000000989C: BEFE0124
	ds_write_b64 v20, v[156:157]                               // 0000000098A0: D89A0000 00009C14
	ds_write_b64 v20, v[160:161] offset:4352                   // 0000000098A8: D89A1100 0000A014
	ds_write_b64 v20, v[164:165] offset:8704                   // 0000000098B0: D89A2200 0000A414
	ds_write_b64 v20, v[168:169] offset:13056                  // 0000000098B8: D89A3300 0000A814
	ds_write_b64 v20, v[172:173] offset:17408                  // 0000000098C0: D89A4400 0000AC14
	ds_write_b64 v20, v[176:177] offset:21760                  // 0000000098C8: D89A5500 0000B014
	ds_write_b64 v20, v[180:181] offset:26112                  // 0000000098D0: D89A6600 0000B414
	ds_write_b64 v20, v[184:185] offset:30464                  // 0000000098D8: D89A7700 0000B814
	ds_write_b64 v20, v[188:189] offset:34816                  // 0000000098E0: D89A8800 0000BC14
	ds_write_b64 v20, v[192:193] offset:2176                   // 0000000098E8: D89A0880 0000C014
	ds_write_b64 v20, v[196:197] offset:6528                   // 0000000098F0: D89A1980 0000C414
	ds_write_b64 v20, v[200:201] offset:10880                  // 0000000098F8: D89A2A80 0000C814
	ds_write_b64 v20, v[204:205] offset:15232                  // 000000009900: D89A3B80 0000CC14
	ds_write_b64 v20, v[208:209] offset:19584                  // 000000009908: D89A4C80 0000D014
	ds_write_b64 v20, v[212:213] offset:23936                  // 000000009910: D89A5D80 0000D414
	ds_write_b64 v20, v[216:217] offset:28288                  // 000000009918: D89A6E80 0000D814
	ds_write_b64 v20, v[220:221] offset:32640                  // 000000009920: D89A7F80 0000DC14
	ds_write_b64 v20, v[224:225] offset:36992                  // 000000009928: D89A9080 0000E014
	s_waitcnt lgkmcnt(0)                                       // 000000009930: BF8CC07F
	s_barrier                                                  // 000000009934: BF8A0000
	ds_read_b32 v156, v21                                      // 000000009938: D86C0000 9C000015
	ds_read_b32 v157, v21 offset:64                            // 000000009940: D86C0040 9D000015
	ds_read_b32 v160, v21 offset:2176                          // 000000009948: D86C0880 A0000015
	ds_read_b32 v161, v21 offset:2240                          // 000000009950: D86C08C0 A1000015
	ds_read_b32 v164, v21 offset:4352                          // 000000009958: D86C1100 A4000015
	ds_read_b32 v165, v21 offset:4416                          // 000000009960: D86C1140 A5000015
	ds_read_b32 v168, v21 offset:6528                          // 000000009968: D86C1980 A8000015
	ds_read_b32 v169, v21 offset:6592                          // 000000009970: D86C19C0 A9000015
	ds_read_b32 v172, v21 offset:8704                          // 000000009978: D86C2200 AC000015
	ds_read_b32 v173, v21 offset:8768                          // 000000009980: D86C2240 AD000015
	ds_read_b32 v176, v21 offset:10880                         // 000000009988: D86C2A80 B0000015
	ds_read_b32 v177, v21 offset:10944                         // 000000009990: D86C2AC0 B1000015
	ds_read_b32 v180, v21 offset:13056                         // 000000009998: D86C3300 B4000015
	ds_read_b32 v181, v21 offset:13120                         // 0000000099A0: D86C3340 B5000015
	ds_read_b32 v184, v21 offset:15232                         // 0000000099A8: D86C3B80 B8000015
	ds_read_b32 v185, v21 offset:15296                         // 0000000099B0: D86C3BC0 B9000015
	ds_read_b32 v188, v21 offset:17408                         // 0000000099B8: D86C4400 BC000015
	ds_read_b32 v189, v21 offset:17472                         // 0000000099C0: D86C4440 BD000015
	ds_read_b32 v192, v21 offset:19584                         // 0000000099C8: D86C4C80 C0000015
	ds_read_b32 v193, v21 offset:19648                         // 0000000099D0: D86C4CC0 C1000015
	ds_read_b32 v196, v21 offset:21760                         // 0000000099D8: D86C5500 C4000015
	ds_read_b32 v197, v21 offset:21824                         // 0000000099E0: D86C5540 C5000015
	ds_read_b32 v200, v21 offset:23936                         // 0000000099E8: D86C5D80 C8000015
	ds_read_b32 v201, v21 offset:24000                         // 0000000099F0: D86C5DC0 C9000015
	ds_read_b32 v204, v21 offset:26112                         // 0000000099F8: D86C6600 CC000015
	ds_read_b32 v205, v21 offset:26176                         // 000000009A00: D86C6640 CD000015
	ds_read_b32 v208, v21 offset:28288                         // 000000009A08: D86C6E80 D0000015
	ds_read_b32 v209, v21 offset:28352                         // 000000009A10: D86C6EC0 D1000015
	ds_read_b32 v212, v21 offset:30464                         // 000000009A18: D86C7700 D4000015
	ds_read_b32 v213, v21 offset:30528                         // 000000009A20: D86C7740 D5000015
	ds_read_b32 v216, v21 offset:32640                         // 000000009A28: D86C7F80 D8000015
	ds_read_b32 v217, v21 offset:32704                         // 000000009A30: D86C7FC0 D9000015
	ds_read_b32 v220, v21 offset:34816                         // 000000009A38: D86C8800 DC000015
	ds_read_b32 v221, v21 offset:34880                         // 000000009A40: D86C8840 DD000015
	ds_read_b32 v224, v21 offset:36992                         // 000000009A48: D86C9080 E0000015
	ds_read_b32 v225, v21 offset:37056                         // 000000009A50: D86C90C0 E1000015
	s_mul_i32 s60, s65, 4                                      // 000000009A58: 923C8441
	s_add_u32 s8, s60, s8                                      // 000000009A5C: 8008083C
	s_addc_u32 s9, 0, s9                                       // 000000009A60: 82090980
	s_waitcnt lgkmcnt(0)                                       // 000000009A64: BF8CC07F
	v_mov_b32_e32 v7, 0                                        // 000000009A68: 7E0E0280
	s_mov_b64 exec, s[36:37]                                   // 000000009A6C: BEFE0124
	v_mov_b32_e32 v6, v64                                      // 000000009A70: 7E0C0340
	s_mov_b64 s[60:61], 0                                      // 000000009A74: BEBC0180
	v_readlane_b32 s82, v3, 0                                  // 000000009A78: D2890052 00010103
	s_and_b32 s82, s82, 0xffffff                               // 000000009A80: 8652FF52 00FFFFFF
	s_cmp_lt_u32 s82, s66                                      // 000000009A88: BF0A4252
	s_cselect_b32 s20, s36, s60                                // 000000009A8C: 85143C24
	v_readlane_b32 s82, v3, 1                                  // 000000009A90: D2890052 00010303
	s_and_b32 s82, s82, 0xffffff                               // 000000009A98: 8652FF52 00FFFFFF
	s_cmp_lt_u32 s82, s66                                      // 000000009AA0: BF0A4252
	s_cselect_b32 s21, s36, s60                                // 000000009AA4: 85153C24
	s_mov_b64 exec, s[20:21]                                   // 000000009AA8: BEFE0114
	global_atomic_add_f32 v6, v156, s[8:9]                     // 000000009AAC: DD348000 00089C06
	global_atomic_add_f32 v6, v160, s[8:9] offset:256          // 000000009AB4: DD348100 0008A006
	s_mov_b64 exec, s[36:37]                                   // 000000009ABC: BEFE0124
	v_mov_b32_e32 v6, v65                                      // 000000009AC0: 7E0C0341
	s_mov_b64 s[60:61], 0                                      // 000000009AC4: BEBC0180
	v_readlane_b32 s82, v3, 2                                  // 000000009AC8: D2890052 00010503
	s_and_b32 s82, s82, 0xffffff                               // 000000009AD0: 8652FF52 00FFFFFF
	s_cmp_lt_u32 s82, s66                                      // 000000009AD8: BF0A4252
	s_cselect_b32 s20, s36, s60                                // 000000009ADC: 85143C24
	v_readlane_b32 s82, v3, 3                                  // 000000009AE0: D2890052 00010703
	s_and_b32 s82, s82, 0xffffff                               // 000000009AE8: 8652FF52 00FFFFFF
	s_cmp_lt_u32 s82, s66                                      // 000000009AF0: BF0A4252
	s_cselect_b32 s21, s36, s60                                // 000000009AF4: 85153C24
	s_mov_b64 exec, s[20:21]                                   // 000000009AF8: BEFE0114
	global_atomic_add_f32 v6, v157, s[8:9]                     // 000000009AFC: DD348000 00089D06
	global_atomic_add_f32 v6, v161, s[8:9] offset:256          // 000000009B04: DD348100 0008A106
	s_mov_b64 exec, s[36:37]                                   // 000000009B0C: BEFE0124
	v_mov_b32_e32 v6, v66                                      // 000000009B10: 7E0C0342
	s_mov_b64 s[60:61], 0                                      // 000000009B14: BEBC0180
	v_readlane_b32 s82, v3, 4                                  // 000000009B18: D2890052 00010903
	s_and_b32 s82, s82, 0xffffff                               // 000000009B20: 8652FF52 00FFFFFF
	s_cmp_lt_u32 s82, s66                                      // 000000009B28: BF0A4252
	s_cselect_b32 s20, s36, s60                                // 000000009B2C: 85143C24
	v_readlane_b32 s82, v3, 5                                  // 000000009B30: D2890052 00010B03
	s_and_b32 s82, s82, 0xffffff                               // 000000009B38: 8652FF52 00FFFFFF
	s_cmp_lt_u32 s82, s66                                      // 000000009B40: BF0A4252
	s_cselect_b32 s21, s36, s60                                // 000000009B44: 85153C24
	s_mov_b64 exec, s[20:21]                                   // 000000009B48: BEFE0114
	global_atomic_add_f32 v6, v164, s[8:9]                     // 000000009B4C: DD348000 0008A406
	global_atomic_add_f32 v6, v168, s[8:9] offset:256          // 000000009B54: DD348100 0008A806
	s_mov_b64 exec, s[36:37]                                   // 000000009B5C: BEFE0124
	v_mov_b32_e32 v6, v67                                      // 000000009B60: 7E0C0343
	s_mov_b64 s[60:61], 0                                      // 000000009B64: BEBC0180
	v_readlane_b32 s82, v3, 6                                  // 000000009B68: D2890052 00010D03
	s_and_b32 s82, s82, 0xffffff                               // 000000009B70: 8652FF52 00FFFFFF
	s_cmp_lt_u32 s82, s66                                      // 000000009B78: BF0A4252
	s_cselect_b32 s20, s36, s60                                // 000000009B7C: 85143C24
	v_readlane_b32 s82, v3, 7                                  // 000000009B80: D2890052 00010F03
	s_and_b32 s82, s82, 0xffffff                               // 000000009B88: 8652FF52 00FFFFFF
	s_cmp_lt_u32 s82, s66                                      // 000000009B90: BF0A4252
	s_cselect_b32 s21, s36, s60                                // 000000009B94: 85153C24
	s_mov_b64 exec, s[20:21]                                   // 000000009B98: BEFE0114
	global_atomic_add_f32 v6, v165, s[8:9]                     // 000000009B9C: DD348000 0008A506
	global_atomic_add_f32 v6, v169, s[8:9] offset:256          // 000000009BA4: DD348100 0008A906
	s_mov_b64 exec, s[36:37]                                   // 000000009BAC: BEFE0124
	v_mov_b32_e32 v6, v68                                      // 000000009BB0: 7E0C0344
	s_mov_b64 s[60:61], 0                                      // 000000009BB4: BEBC0180
	v_readlane_b32 s82, v3, 8                                  // 000000009BB8: D2890052 00011103
	s_and_b32 s82, s82, 0xffffff                               // 000000009BC0: 8652FF52 00FFFFFF
	s_cmp_lt_u32 s82, s66                                      // 000000009BC8: BF0A4252
	s_cselect_b32 s20, s36, s60                                // 000000009BCC: 85143C24
	v_readlane_b32 s82, v3, 9                                  // 000000009BD0: D2890052 00011303
	s_and_b32 s82, s82, 0xffffff                               // 000000009BD8: 8652FF52 00FFFFFF
	s_cmp_lt_u32 s82, s66                                      // 000000009BE0: BF0A4252
	s_cselect_b32 s21, s36, s60                                // 000000009BE4: 85153C24
	s_mov_b64 exec, s[20:21]                                   // 000000009BE8: BEFE0114
	global_atomic_add_f32 v6, v172, s[8:9]                     // 000000009BEC: DD348000 0008AC06
	global_atomic_add_f32 v6, v176, s[8:9] offset:256          // 000000009BF4: DD348100 0008B006
	s_mov_b64 exec, s[36:37]                                   // 000000009BFC: BEFE0124
	v_mov_b32_e32 v6, v69                                      // 000000009C00: 7E0C0345
	s_mov_b64 s[60:61], 0                                      // 000000009C04: BEBC0180
	v_readlane_b32 s82, v3, 10                                 // 000000009C08: D2890052 00011503
	s_and_b32 s82, s82, 0xffffff                               // 000000009C10: 8652FF52 00FFFFFF
	s_cmp_lt_u32 s82, s66                                      // 000000009C18: BF0A4252
	s_cselect_b32 s20, s36, s60                                // 000000009C1C: 85143C24
	v_readlane_b32 s82, v3, 11                                 // 000000009C20: D2890052 00011703
	s_and_b32 s82, s82, 0xffffff                               // 000000009C28: 8652FF52 00FFFFFF
	s_cmp_lt_u32 s82, s66                                      // 000000009C30: BF0A4252
	s_cselect_b32 s21, s36, s60                                // 000000009C34: 85153C24
	s_mov_b64 exec, s[20:21]                                   // 000000009C38: BEFE0114
	global_atomic_add_f32 v6, v173, s[8:9]                     // 000000009C3C: DD348000 0008AD06
	global_atomic_add_f32 v6, v177, s[8:9] offset:256          // 000000009C44: DD348100 0008B106
	s_mov_b64 exec, s[36:37]                                   // 000000009C4C: BEFE0124
	v_mov_b32_e32 v6, v70                                      // 000000009C50: 7E0C0346
	s_mov_b64 s[60:61], 0                                      // 000000009C54: BEBC0180
	v_readlane_b32 s82, v3, 12                                 // 000000009C58: D2890052 00011903
	s_and_b32 s82, s82, 0xffffff                               // 000000009C60: 8652FF52 00FFFFFF
	s_cmp_lt_u32 s82, s66                                      // 000000009C68: BF0A4252
	s_cselect_b32 s20, s36, s60                                // 000000009C6C: 85143C24
	v_readlane_b32 s82, v3, 13                                 // 000000009C70: D2890052 00011B03
	s_and_b32 s82, s82, 0xffffff                               // 000000009C78: 8652FF52 00FFFFFF
	s_cmp_lt_u32 s82, s66                                      // 000000009C80: BF0A4252
	s_cselect_b32 s21, s36, s60                                // 000000009C84: 85153C24
	s_mov_b64 exec, s[20:21]                                   // 000000009C88: BEFE0114
	global_atomic_add_f32 v6, v180, s[8:9]                     // 000000009C8C: DD348000 0008B406
	global_atomic_add_f32 v6, v184, s[8:9] offset:256          // 000000009C94: DD348100 0008B806
	s_mov_b64 exec, s[36:37]                                   // 000000009C9C: BEFE0124
	v_mov_b32_e32 v6, v71                                      // 000000009CA0: 7E0C0347
	s_mov_b64 s[60:61], 0                                      // 000000009CA4: BEBC0180
	v_readlane_b32 s82, v3, 14                                 // 000000009CA8: D2890052 00011D03
	s_and_b32 s82, s82, 0xffffff                               // 000000009CB0: 8652FF52 00FFFFFF
	s_cmp_lt_u32 s82, s66                                      // 000000009CB8: BF0A4252
	s_cselect_b32 s20, s36, s60                                // 000000009CBC: 85143C24
	v_readlane_b32 s82, v3, 15                                 // 000000009CC0: D2890052 00011F03
	s_and_b32 s82, s82, 0xffffff                               // 000000009CC8: 8652FF52 00FFFFFF
	s_cmp_lt_u32 s82, s66                                      // 000000009CD0: BF0A4252
	s_cselect_b32 s21, s36, s60                                // 000000009CD4: 85153C24
	s_mov_b64 exec, s[20:21]                                   // 000000009CD8: BEFE0114
	global_atomic_add_f32 v6, v181, s[8:9]                     // 000000009CDC: DD348000 0008B506
	global_atomic_add_f32 v6, v185, s[8:9] offset:256          // 000000009CE4: DD348100 0008B906
	s_mov_b64 exec, s[36:37]                                   // 000000009CEC: BEFE0124
	v_mov_b32_e32 v6, v72                                      // 000000009CF0: 7E0C0348
	s_mov_b64 s[60:61], 0                                      // 000000009CF4: BEBC0180
	v_readlane_b32 s82, v3, 16                                 // 000000009CF8: D2890052 00012103
	s_and_b32 s82, s82, 0xffffff                               // 000000009D00: 8652FF52 00FFFFFF
	s_cmp_lt_u32 s82, s66                                      // 000000009D08: BF0A4252
	s_cselect_b32 s20, s36, s60                                // 000000009D0C: 85143C24
	v_readlane_b32 s82, v3, 17                                 // 000000009D10: D2890052 00012303
	s_and_b32 s82, s82, 0xffffff                               // 000000009D18: 8652FF52 00FFFFFF
	s_cmp_lt_u32 s82, s66                                      // 000000009D20: BF0A4252
	s_cselect_b32 s21, s36, s60                                // 000000009D24: 85153C24
	s_mov_b64 exec, s[20:21]                                   // 000000009D28: BEFE0114
	global_atomic_add_f32 v6, v188, s[8:9]                     // 000000009D2C: DD348000 0008BC06
	global_atomic_add_f32 v6, v192, s[8:9] offset:256          // 000000009D34: DD348100 0008C006
	s_mov_b64 exec, s[36:37]                                   // 000000009D3C: BEFE0124
	v_mov_b32_e32 v6, v73                                      // 000000009D40: 7E0C0349
	s_mov_b64 s[60:61], 0                                      // 000000009D44: BEBC0180
	v_readlane_b32 s82, v3, 18                                 // 000000009D48: D2890052 00012503
	s_and_b32 s82, s82, 0xffffff                               // 000000009D50: 8652FF52 00FFFFFF
	s_cmp_lt_u32 s82, s66                                      // 000000009D58: BF0A4252
	s_cselect_b32 s20, s36, s60                                // 000000009D5C: 85143C24
	v_readlane_b32 s82, v3, 19                                 // 000000009D60: D2890052 00012703
	s_and_b32 s82, s82, 0xffffff                               // 000000009D68: 8652FF52 00FFFFFF
	s_cmp_lt_u32 s82, s66                                      // 000000009D70: BF0A4252
	s_cselect_b32 s21, s36, s60                                // 000000009D74: 85153C24
	s_mov_b64 exec, s[20:21]                                   // 000000009D78: BEFE0114
	global_atomic_add_f32 v6, v189, s[8:9]                     // 000000009D7C: DD348000 0008BD06
	global_atomic_add_f32 v6, v193, s[8:9] offset:256          // 000000009D84: DD348100 0008C106
	s_mov_b64 exec, s[36:37]                                   // 000000009D8C: BEFE0124
	v_mov_b32_e32 v6, v74                                      // 000000009D90: 7E0C034A
	s_mov_b64 s[60:61], 0                                      // 000000009D94: BEBC0180
	v_readlane_b32 s82, v3, 20                                 // 000000009D98: D2890052 00012903
	s_and_b32 s82, s82, 0xffffff                               // 000000009DA0: 8652FF52 00FFFFFF
	s_cmp_lt_u32 s82, s66                                      // 000000009DA8: BF0A4252
	s_cselect_b32 s20, s36, s60                                // 000000009DAC: 85143C24
	v_readlane_b32 s82, v3, 21                                 // 000000009DB0: D2890052 00012B03
	s_and_b32 s82, s82, 0xffffff                               // 000000009DB8: 8652FF52 00FFFFFF
	s_cmp_lt_u32 s82, s66                                      // 000000009DC0: BF0A4252
	s_cselect_b32 s21, s36, s60                                // 000000009DC4: 85153C24
	s_mov_b64 exec, s[20:21]                                   // 000000009DC8: BEFE0114
	global_atomic_add_f32 v6, v196, s[8:9]                     // 000000009DCC: DD348000 0008C406
	global_atomic_add_f32 v6, v200, s[8:9] offset:256          // 000000009DD4: DD348100 0008C806
	s_mov_b64 exec, s[36:37]                                   // 000000009DDC: BEFE0124
	v_mov_b32_e32 v6, v75                                      // 000000009DE0: 7E0C034B
	s_mov_b64 s[60:61], 0                                      // 000000009DE4: BEBC0180
	v_readlane_b32 s82, v3, 22                                 // 000000009DE8: D2890052 00012D03
	s_and_b32 s82, s82, 0xffffff                               // 000000009DF0: 8652FF52 00FFFFFF
	s_cmp_lt_u32 s82, s66                                      // 000000009DF8: BF0A4252
	s_cselect_b32 s20, s36, s60                                // 000000009DFC: 85143C24
	v_readlane_b32 s82, v3, 23                                 // 000000009E00: D2890052 00012F03
	s_and_b32 s82, s82, 0xffffff                               // 000000009E08: 8652FF52 00FFFFFF
	s_cmp_lt_u32 s82, s66                                      // 000000009E10: BF0A4252
	s_cselect_b32 s21, s36, s60                                // 000000009E14: 85153C24
	s_mov_b64 exec, s[20:21]                                   // 000000009E18: BEFE0114
	global_atomic_add_f32 v6, v197, s[8:9]                     // 000000009E1C: DD348000 0008C506
	global_atomic_add_f32 v6, v201, s[8:9] offset:256          // 000000009E24: DD348100 0008C906
	s_mov_b64 exec, s[36:37]                                   // 000000009E2C: BEFE0124
	v_mov_b32_e32 v6, v76                                      // 000000009E30: 7E0C034C
	s_mov_b64 s[60:61], 0                                      // 000000009E34: BEBC0180
	v_readlane_b32 s82, v3, 24                                 // 000000009E38: D2890052 00013103
	s_and_b32 s82, s82, 0xffffff                               // 000000009E40: 8652FF52 00FFFFFF
	s_cmp_lt_u32 s82, s66                                      // 000000009E48: BF0A4252
	s_cselect_b32 s20, s36, s60                                // 000000009E4C: 85143C24
	v_readlane_b32 s82, v3, 25                                 // 000000009E50: D2890052 00013303
	s_and_b32 s82, s82, 0xffffff                               // 000000009E58: 8652FF52 00FFFFFF
	s_cmp_lt_u32 s82, s66                                      // 000000009E60: BF0A4252
	s_cselect_b32 s21, s36, s60                                // 000000009E64: 85153C24
	s_mov_b64 exec, s[20:21]                                   // 000000009E68: BEFE0114
	global_atomic_add_f32 v6, v204, s[8:9]                     // 000000009E6C: DD348000 0008CC06
	global_atomic_add_f32 v6, v208, s[8:9] offset:256          // 000000009E74: DD348100 0008D006
	s_mov_b64 exec, s[36:37]                                   // 000000009E7C: BEFE0124
	v_mov_b32_e32 v6, v77                                      // 000000009E80: 7E0C034D
	s_mov_b64 s[60:61], 0                                      // 000000009E84: BEBC0180
	v_readlane_b32 s82, v3, 26                                 // 000000009E88: D2890052 00013503
	s_and_b32 s82, s82, 0xffffff                               // 000000009E90: 8652FF52 00FFFFFF
	s_cmp_lt_u32 s82, s66                                      // 000000009E98: BF0A4252
	s_cselect_b32 s20, s36, s60                                // 000000009E9C: 85143C24
	v_readlane_b32 s82, v3, 27                                 // 000000009EA0: D2890052 00013703
	s_and_b32 s82, s82, 0xffffff                               // 000000009EA8: 8652FF52 00FFFFFF
	s_cmp_lt_u32 s82, s66                                      // 000000009EB0: BF0A4252
	s_cselect_b32 s21, s36, s60                                // 000000009EB4: 85153C24
	s_mov_b64 exec, s[20:21]                                   // 000000009EB8: BEFE0114
	global_atomic_add_f32 v6, v205, s[8:9]                     // 000000009EBC: DD348000 0008CD06
	global_atomic_add_f32 v6, v209, s[8:9] offset:256          // 000000009EC4: DD348100 0008D106
	s_mov_b64 exec, s[36:37]                                   // 000000009ECC: BEFE0124
	v_mov_b32_e32 v6, v78                                      // 000000009ED0: 7E0C034E
	s_mov_b64 s[60:61], 0                                      // 000000009ED4: BEBC0180
	v_readlane_b32 s82, v3, 28                                 // 000000009ED8: D2890052 00013903
	s_and_b32 s82, s82, 0xffffff                               // 000000009EE0: 8652FF52 00FFFFFF
	s_cmp_lt_u32 s82, s66                                      // 000000009EE8: BF0A4252
	s_cselect_b32 s20, s36, s60                                // 000000009EEC: 85143C24
	v_readlane_b32 s82, v3, 29                                 // 000000009EF0: D2890052 00013B03
	s_and_b32 s82, s82, 0xffffff                               // 000000009EF8: 8652FF52 00FFFFFF
	s_cmp_lt_u32 s82, s66                                      // 000000009F00: BF0A4252
	s_cselect_b32 s21, s36, s60                                // 000000009F04: 85153C24
	s_mov_b64 exec, s[20:21]                                   // 000000009F08: BEFE0114
	global_atomic_add_f32 v6, v212, s[8:9]                     // 000000009F0C: DD348000 0008D406
	global_atomic_add_f32 v6, v216, s[8:9] offset:256          // 000000009F14: DD348100 0008D806
	s_mov_b64 exec, s[36:37]                                   // 000000009F1C: BEFE0124
	v_mov_b32_e32 v6, v79                                      // 000000009F20: 7E0C034F
	s_mov_b64 s[60:61], 0                                      // 000000009F24: BEBC0180
	v_readlane_b32 s82, v3, 30                                 // 000000009F28: D2890052 00013D03
	s_and_b32 s82, s82, 0xffffff                               // 000000009F30: 8652FF52 00FFFFFF
	s_cmp_lt_u32 s82, s66                                      // 000000009F38: BF0A4252
	s_cselect_b32 s20, s36, s60                                // 000000009F3C: 85143C24
	v_readlane_b32 s82, v3, 31                                 // 000000009F40: D2890052 00013F03
	s_and_b32 s82, s82, 0xffffff                               // 000000009F48: 8652FF52 00FFFFFF
	s_cmp_lt_u32 s82, s66                                      // 000000009F50: BF0A4252
	s_cselect_b32 s21, s36, s60                                // 000000009F54: 85153C24
	s_mov_b64 exec, s[20:21]                                   // 000000009F58: BEFE0114
	global_atomic_add_f32 v6, v213, s[8:9]                     // 000000009F5C: DD348000 0008D506
	global_atomic_add_f32 v6, v217, s[8:9] offset:256          // 000000009F64: DD348100 0008D906
	s_mov_b64 exec, s[36:37]                                   // 000000009F6C: BEFE0124
	v_mov_b32_e32 v6, v80                                      // 000000009F70: 7E0C0350
	s_mov_b64 s[60:61], 0                                      // 000000009F74: BEBC0180
	v_readlane_b32 s82, v3, 32                                 // 000000009F78: D2890052 00014103
	s_and_b32 s82, s82, 0xffffff                               // 000000009F80: 8652FF52 00FFFFFF
	s_cmp_lt_u32 s82, s66                                      // 000000009F88: BF0A4252
	s_cselect_b32 s20, s36, s60                                // 000000009F8C: 85143C24
	v_readlane_b32 s82, v3, 33                                 // 000000009F90: D2890052 00014303
	s_and_b32 s82, s82, 0xffffff                               // 000000009F98: 8652FF52 00FFFFFF
	s_cmp_lt_u32 s82, s66                                      // 000000009FA0: BF0A4252
	s_cselect_b32 s21, s36, s60                                // 000000009FA4: 85153C24
	s_mov_b64 exec, s[20:21]                                   // 000000009FA8: BEFE0114
	global_atomic_add_f32 v6, v220, s[8:9]                     // 000000009FAC: DD348000 0008DC06
	global_atomic_add_f32 v6, v224, s[8:9] offset:256          // 000000009FB4: DD348100 0008E006
	s_mov_b64 exec, s[36:37]                                   // 000000009FBC: BEFE0124
	v_mov_b32_e32 v6, v81                                      // 000000009FC0: 7E0C0351
	s_mov_b64 s[60:61], 0                                      // 000000009FC4: BEBC0180
	v_readlane_b32 s82, v3, 34                                 // 000000009FC8: D2890052 00014503
	s_and_b32 s82, s82, 0xffffff                               // 000000009FD0: 8652FF52 00FFFFFF
	s_cmp_lt_u32 s82, s66                                      // 000000009FD8: BF0A4252
	s_cselect_b32 s20, s36, s60                                // 000000009FDC: 85143C24
	v_readlane_b32 s82, v3, 35                                 // 000000009FE0: D2890052 00014703
	s_and_b32 s82, s82, 0xffffff                               // 000000009FE8: 8652FF52 00FFFFFF
	s_cmp_lt_u32 s82, s66                                      // 000000009FF0: BF0A4252
	s_cselect_b32 s21, s36, s60                                // 000000009FF4: 85153C24
	s_mov_b64 exec, s[20:21]                                   // 000000009FF8: BEFE0114
	global_atomic_add_f32 v6, v221, s[8:9]                     // 000000009FFC: DD348000 0008DD06
	global_atomic_add_f32 v6, v225, s[8:9] offset:256          // 00000000A004: DD348100 0008E106
	s_mov_b64 exec, s[36:37]                                   // 00000000A00C: BEFE0124
	ds_write_b64 v20, v[158:159]                               // 00000000A010: D89A0000 00009E14
	ds_write_b64 v20, v[162:163] offset:4352                   // 00000000A018: D89A1100 0000A214
	ds_write_b64 v20, v[166:167] offset:8704                   // 00000000A020: D89A2200 0000A614
	ds_write_b64 v20, v[170:171] offset:13056                  // 00000000A028: D89A3300 0000AA14
	ds_write_b64 v20, v[174:175] offset:17408                  // 00000000A030: D89A4400 0000AE14
	ds_write_b64 v20, v[178:179] offset:21760                  // 00000000A038: D89A5500 0000B214
	ds_write_b64 v20, v[182:183] offset:26112                  // 00000000A040: D89A6600 0000B614
	ds_write_b64 v20, v[186:187] offset:30464                  // 00000000A048: D89A7700 0000BA14
	ds_write_b64 v20, v[190:191] offset:34816                  // 00000000A050: D89A8800 0000BE14
	ds_write_b64 v20, v[194:195] offset:2176                   // 00000000A058: D89A0880 0000C214
	ds_write_b64 v20, v[198:199] offset:6528                   // 00000000A060: D89A1980 0000C614
	ds_write_b64 v20, v[202:203] offset:10880                  // 00000000A068: D89A2A80 0000CA14
	ds_write_b64 v20, v[206:207] offset:15232                  // 00000000A070: D89A3B80 0000CE14
	ds_write_b64 v20, v[210:211] offset:19584                  // 00000000A078: D89A4C80 0000D214
	ds_write_b64 v20, v[214:215] offset:23936                  // 00000000A080: D89A5D80 0000D614
	ds_write_b64 v20, v[218:219] offset:28288                  // 00000000A088: D89A6E80 0000DA14
	ds_write_b64 v20, v[222:223] offset:32640                  // 00000000A090: D89A7F80 0000DE14
	ds_write_b64 v20, v[226:227] offset:36992                  // 00000000A098: D89A9080 0000E214
	s_waitcnt lgkmcnt(0)                                       // 00000000A0A0: BF8CC07F
	s_barrier                                                  // 00000000A0A4: BF8A0000
	ds_read_b32 v158, v21                                      // 00000000A0A8: D86C0000 9E000015
	ds_read_b32 v159, v21 offset:64                            // 00000000A0B0: D86C0040 9F000015
	ds_read_b32 v162, v21 offset:2176                          // 00000000A0B8: D86C0880 A2000015
	ds_read_b32 v163, v21 offset:2240                          // 00000000A0C0: D86C08C0 A3000015
	ds_read_b32 v166, v21 offset:4352                          // 00000000A0C8: D86C1100 A6000015
	ds_read_b32 v167, v21 offset:4416                          // 00000000A0D0: D86C1140 A7000015
	ds_read_b32 v170, v21 offset:6528                          // 00000000A0D8: D86C1980 AA000015
	ds_read_b32 v171, v21 offset:6592                          // 00000000A0E0: D86C19C0 AB000015
	ds_read_b32 v174, v21 offset:8704                          // 00000000A0E8: D86C2200 AE000015
	ds_read_b32 v175, v21 offset:8768                          // 00000000A0F0: D86C2240 AF000015
	ds_read_b32 v178, v21 offset:10880                         // 00000000A0F8: D86C2A80 B2000015
	ds_read_b32 v179, v21 offset:10944                         // 00000000A100: D86C2AC0 B3000015
	ds_read_b32 v182, v21 offset:13056                         // 00000000A108: D86C3300 B6000015
	ds_read_b32 v183, v21 offset:13120                         // 00000000A110: D86C3340 B7000015
	ds_read_b32 v186, v21 offset:15232                         // 00000000A118: D86C3B80 BA000015
	ds_read_b32 v187, v21 offset:15296                         // 00000000A120: D86C3BC0 BB000015
	ds_read_b32 v190, v21 offset:17408                         // 00000000A128: D86C4400 BE000015
	ds_read_b32 v191, v21 offset:17472                         // 00000000A130: D86C4440 BF000015
	ds_read_b32 v194, v21 offset:19584                         // 00000000A138: D86C4C80 C2000015
	ds_read_b32 v195, v21 offset:19648                         // 00000000A140: D86C4CC0 C3000015
	ds_read_b32 v198, v21 offset:21760                         // 00000000A148: D86C5500 C6000015
	ds_read_b32 v199, v21 offset:21824                         // 00000000A150: D86C5540 C7000015
	ds_read_b32 v202, v21 offset:23936                         // 00000000A158: D86C5D80 CA000015
	ds_read_b32 v203, v21 offset:24000                         // 00000000A160: D86C5DC0 CB000015
	ds_read_b32 v206, v21 offset:26112                         // 00000000A168: D86C6600 CE000015
	ds_read_b32 v207, v21 offset:26176                         // 00000000A170: D86C6640 CF000015
	ds_read_b32 v210, v21 offset:28288                         // 00000000A178: D86C6E80 D2000015
	ds_read_b32 v211, v21 offset:28352                         // 00000000A180: D86C6EC0 D3000015
	ds_read_b32 v214, v21 offset:30464                         // 00000000A188: D86C7700 D6000015
	ds_read_b32 v215, v21 offset:30528                         // 00000000A190: D86C7740 D7000015
	ds_read_b32 v218, v21 offset:32640                         // 00000000A198: D86C7F80 DA000015
	ds_read_b32 v219, v21 offset:32704                         // 00000000A1A0: D86C7FC0 DB000015
	ds_read_b32 v222, v21 offset:34816                         // 00000000A1A8: D86C8800 DE000015
	ds_read_b32 v223, v21 offset:34880                         // 00000000A1B0: D86C8840 DF000015
	ds_read_b32 v226, v21 offset:36992                         // 00000000A1B8: D86C9080 E2000015
	ds_read_b32 v227, v21 offset:37056                         // 00000000A1C0: D86C90C0 E3000015
	s_waitcnt lgkmcnt(0)                                       // 00000000A1C8: BF8CC07F
	v_mov_b32_e32 v7, 0                                        // 00000000A1CC: 7E0E0280
	s_mov_b64 exec, s[36:37]                                   // 00000000A1D0: BEFE0124
	v_mov_b32_e32 v6, v64                                      // 00000000A1D4: 7E0C0340
	s_mov_b64 s[60:61], 0                                      // 00000000A1D8: BEBC0180
	v_readlane_b32 s82, v3, 0                                  // 00000000A1DC: D2890052 00010103
	s_and_b32 s82, s82, 0xffffff                               // 00000000A1E4: 8652FF52 00FFFFFF
	s_cmp_lt_u32 s82, s66                                      // 00000000A1EC: BF0A4252
	s_cselect_b32 s20, s36, s60                                // 00000000A1F0: 85143C24
	v_readlane_b32 s82, v3, 1                                  // 00000000A1F4: D2890052 00010303
	s_and_b32 s82, s82, 0xffffff                               // 00000000A1FC: 8652FF52 00FFFFFF
	s_cmp_lt_u32 s82, s66                                      // 00000000A204: BF0A4252
	s_cselect_b32 s21, s36, s60                                // 00000000A208: 85153C24
	s_mov_b64 exec, s[20:21]                                   // 00000000A20C: BEFE0114
	global_atomic_add_f32 v6, v158, s[8:9] offset:8            // 00000000A210: DD348008 00089E06
	global_atomic_add_f32 v6, v162, s[8:9] offset:264          // 00000000A218: DD348108 0008A206
	s_mov_b64 exec, s[36:37]                                   // 00000000A220: BEFE0124
	v_mov_b32_e32 v6, v65                                      // 00000000A224: 7E0C0341
	s_mov_b64 s[60:61], 0                                      // 00000000A228: BEBC0180
	v_readlane_b32 s82, v3, 2                                  // 00000000A22C: D2890052 00010503
	s_and_b32 s82, s82, 0xffffff                               // 00000000A234: 8652FF52 00FFFFFF
	s_cmp_lt_u32 s82, s66                                      // 00000000A23C: BF0A4252
	s_cselect_b32 s20, s36, s60                                // 00000000A240: 85143C24
	v_readlane_b32 s82, v3, 3                                  // 00000000A244: D2890052 00010703
	s_and_b32 s82, s82, 0xffffff                               // 00000000A24C: 8652FF52 00FFFFFF
	s_cmp_lt_u32 s82, s66                                      // 00000000A254: BF0A4252
	s_cselect_b32 s21, s36, s60                                // 00000000A258: 85153C24
	s_mov_b64 exec, s[20:21]                                   // 00000000A25C: BEFE0114
	global_atomic_add_f32 v6, v159, s[8:9] offset:8            // 00000000A260: DD348008 00089F06
	global_atomic_add_f32 v6, v163, s[8:9] offset:264          // 00000000A268: DD348108 0008A306
	s_mov_b64 exec, s[36:37]                                   // 00000000A270: BEFE0124
	v_mov_b32_e32 v6, v66                                      // 00000000A274: 7E0C0342
	s_mov_b64 s[60:61], 0                                      // 00000000A278: BEBC0180
	v_readlane_b32 s82, v3, 4                                  // 00000000A27C: D2890052 00010903
	s_and_b32 s82, s82, 0xffffff                               // 00000000A284: 8652FF52 00FFFFFF
	s_cmp_lt_u32 s82, s66                                      // 00000000A28C: BF0A4252
	s_cselect_b32 s20, s36, s60                                // 00000000A290: 85143C24
	v_readlane_b32 s82, v3, 5                                  // 00000000A294: D2890052 00010B03
	s_and_b32 s82, s82, 0xffffff                               // 00000000A29C: 8652FF52 00FFFFFF
	s_cmp_lt_u32 s82, s66                                      // 00000000A2A4: BF0A4252
	s_cselect_b32 s21, s36, s60                                // 00000000A2A8: 85153C24
	s_mov_b64 exec, s[20:21]                                   // 00000000A2AC: BEFE0114
	global_atomic_add_f32 v6, v166, s[8:9] offset:8            // 00000000A2B0: DD348008 0008A606
	global_atomic_add_f32 v6, v170, s[8:9] offset:264          // 00000000A2B8: DD348108 0008AA06
	s_mov_b64 exec, s[36:37]                                   // 00000000A2C0: BEFE0124
	v_mov_b32_e32 v6, v67                                      // 00000000A2C4: 7E0C0343
	s_mov_b64 s[60:61], 0                                      // 00000000A2C8: BEBC0180
	v_readlane_b32 s82, v3, 6                                  // 00000000A2CC: D2890052 00010D03
	s_and_b32 s82, s82, 0xffffff                               // 00000000A2D4: 8652FF52 00FFFFFF
	s_cmp_lt_u32 s82, s66                                      // 00000000A2DC: BF0A4252
	s_cselect_b32 s20, s36, s60                                // 00000000A2E0: 85143C24
	v_readlane_b32 s82, v3, 7                                  // 00000000A2E4: D2890052 00010F03
	s_and_b32 s82, s82, 0xffffff                               // 00000000A2EC: 8652FF52 00FFFFFF
	s_cmp_lt_u32 s82, s66                                      // 00000000A2F4: BF0A4252
	s_cselect_b32 s21, s36, s60                                // 00000000A2F8: 85153C24
	s_mov_b64 exec, s[20:21]                                   // 00000000A2FC: BEFE0114
	global_atomic_add_f32 v6, v167, s[8:9] offset:8            // 00000000A300: DD348008 0008A706
	global_atomic_add_f32 v6, v171, s[8:9] offset:264          // 00000000A308: DD348108 0008AB06
	s_mov_b64 exec, s[36:37]                                   // 00000000A310: BEFE0124
	v_mov_b32_e32 v6, v68                                      // 00000000A314: 7E0C0344
	s_mov_b64 s[60:61], 0                                      // 00000000A318: BEBC0180
	v_readlane_b32 s82, v3, 8                                  // 00000000A31C: D2890052 00011103
	s_and_b32 s82, s82, 0xffffff                               // 00000000A324: 8652FF52 00FFFFFF
	s_cmp_lt_u32 s82, s66                                      // 00000000A32C: BF0A4252
	s_cselect_b32 s20, s36, s60                                // 00000000A330: 85143C24
	v_readlane_b32 s82, v3, 9                                  // 00000000A334: D2890052 00011303
	s_and_b32 s82, s82, 0xffffff                               // 00000000A33C: 8652FF52 00FFFFFF
	s_cmp_lt_u32 s82, s66                                      // 00000000A344: BF0A4252
	s_cselect_b32 s21, s36, s60                                // 00000000A348: 85153C24
	s_mov_b64 exec, s[20:21]                                   // 00000000A34C: BEFE0114
	global_atomic_add_f32 v6, v174, s[8:9] offset:8            // 00000000A350: DD348008 0008AE06
	global_atomic_add_f32 v6, v178, s[8:9] offset:264          // 00000000A358: DD348108 0008B206
	s_mov_b64 exec, s[36:37]                                   // 00000000A360: BEFE0124
	v_mov_b32_e32 v6, v69                                      // 00000000A364: 7E0C0345
	s_mov_b64 s[60:61], 0                                      // 00000000A368: BEBC0180
	v_readlane_b32 s82, v3, 10                                 // 00000000A36C: D2890052 00011503
	s_and_b32 s82, s82, 0xffffff                               // 00000000A374: 8652FF52 00FFFFFF
	s_cmp_lt_u32 s82, s66                                      // 00000000A37C: BF0A4252
	s_cselect_b32 s20, s36, s60                                // 00000000A380: 85143C24
	v_readlane_b32 s82, v3, 11                                 // 00000000A384: D2890052 00011703
	s_and_b32 s82, s82, 0xffffff                               // 00000000A38C: 8652FF52 00FFFFFF
	s_cmp_lt_u32 s82, s66                                      // 00000000A394: BF0A4252
	s_cselect_b32 s21, s36, s60                                // 00000000A398: 85153C24
	s_mov_b64 exec, s[20:21]                                   // 00000000A39C: BEFE0114
	global_atomic_add_f32 v6, v175, s[8:9] offset:8            // 00000000A3A0: DD348008 0008AF06
	global_atomic_add_f32 v6, v179, s[8:9] offset:264          // 00000000A3A8: DD348108 0008B306
	s_mov_b64 exec, s[36:37]                                   // 00000000A3B0: BEFE0124
	v_mov_b32_e32 v6, v70                                      // 00000000A3B4: 7E0C0346
	s_mov_b64 s[60:61], 0                                      // 00000000A3B8: BEBC0180
	v_readlane_b32 s82, v3, 12                                 // 00000000A3BC: D2890052 00011903
	s_and_b32 s82, s82, 0xffffff                               // 00000000A3C4: 8652FF52 00FFFFFF
	s_cmp_lt_u32 s82, s66                                      // 00000000A3CC: BF0A4252
	s_cselect_b32 s20, s36, s60                                // 00000000A3D0: 85143C24
	v_readlane_b32 s82, v3, 13                                 // 00000000A3D4: D2890052 00011B03
	s_and_b32 s82, s82, 0xffffff                               // 00000000A3DC: 8652FF52 00FFFFFF
	s_cmp_lt_u32 s82, s66                                      // 00000000A3E4: BF0A4252
	s_cselect_b32 s21, s36, s60                                // 00000000A3E8: 85153C24
	s_mov_b64 exec, s[20:21]                                   // 00000000A3EC: BEFE0114
	global_atomic_add_f32 v6, v182, s[8:9] offset:8            // 00000000A3F0: DD348008 0008B606
	global_atomic_add_f32 v6, v186, s[8:9] offset:264          // 00000000A3F8: DD348108 0008BA06
	s_mov_b64 exec, s[36:37]                                   // 00000000A400: BEFE0124
	v_mov_b32_e32 v6, v71                                      // 00000000A404: 7E0C0347
	s_mov_b64 s[60:61], 0                                      // 00000000A408: BEBC0180
	v_readlane_b32 s82, v3, 14                                 // 00000000A40C: D2890052 00011D03
	s_and_b32 s82, s82, 0xffffff                               // 00000000A414: 8652FF52 00FFFFFF
	s_cmp_lt_u32 s82, s66                                      // 00000000A41C: BF0A4252
	s_cselect_b32 s20, s36, s60                                // 00000000A420: 85143C24
	v_readlane_b32 s82, v3, 15                                 // 00000000A424: D2890052 00011F03
	s_and_b32 s82, s82, 0xffffff                               // 00000000A42C: 8652FF52 00FFFFFF
	s_cmp_lt_u32 s82, s66                                      // 00000000A434: BF0A4252
	s_cselect_b32 s21, s36, s60                                // 00000000A438: 85153C24
	s_mov_b64 exec, s[20:21]                                   // 00000000A43C: BEFE0114
	global_atomic_add_f32 v6, v183, s[8:9] offset:8            // 00000000A440: DD348008 0008B706
	global_atomic_add_f32 v6, v187, s[8:9] offset:264          // 00000000A448: DD348108 0008BB06
	s_mov_b64 exec, s[36:37]                                   // 00000000A450: BEFE0124
	v_mov_b32_e32 v6, v72                                      // 00000000A454: 7E0C0348
	s_mov_b64 s[60:61], 0                                      // 00000000A458: BEBC0180
	v_readlane_b32 s82, v3, 16                                 // 00000000A45C: D2890052 00012103
	s_and_b32 s82, s82, 0xffffff                               // 00000000A464: 8652FF52 00FFFFFF
	s_cmp_lt_u32 s82, s66                                      // 00000000A46C: BF0A4252
	s_cselect_b32 s20, s36, s60                                // 00000000A470: 85143C24
	v_readlane_b32 s82, v3, 17                                 // 00000000A474: D2890052 00012303
	s_and_b32 s82, s82, 0xffffff                               // 00000000A47C: 8652FF52 00FFFFFF
	s_cmp_lt_u32 s82, s66                                      // 00000000A484: BF0A4252
	s_cselect_b32 s21, s36, s60                                // 00000000A488: 85153C24
	s_mov_b64 exec, s[20:21]                                   // 00000000A48C: BEFE0114
	global_atomic_add_f32 v6, v190, s[8:9] offset:8            // 00000000A490: DD348008 0008BE06
	global_atomic_add_f32 v6, v194, s[8:9] offset:264          // 00000000A498: DD348108 0008C206
	s_mov_b64 exec, s[36:37]                                   // 00000000A4A0: BEFE0124
	v_mov_b32_e32 v6, v73                                      // 00000000A4A4: 7E0C0349
	s_mov_b64 s[60:61], 0                                      // 00000000A4A8: BEBC0180
	v_readlane_b32 s82, v3, 18                                 // 00000000A4AC: D2890052 00012503
	s_and_b32 s82, s82, 0xffffff                               // 00000000A4B4: 8652FF52 00FFFFFF
	s_cmp_lt_u32 s82, s66                                      // 00000000A4BC: BF0A4252
	s_cselect_b32 s20, s36, s60                                // 00000000A4C0: 85143C24
	v_readlane_b32 s82, v3, 19                                 // 00000000A4C4: D2890052 00012703
	s_and_b32 s82, s82, 0xffffff                               // 00000000A4CC: 8652FF52 00FFFFFF
	s_cmp_lt_u32 s82, s66                                      // 00000000A4D4: BF0A4252
	s_cselect_b32 s21, s36, s60                                // 00000000A4D8: 85153C24
	s_mov_b64 exec, s[20:21]                                   // 00000000A4DC: BEFE0114
	global_atomic_add_f32 v6, v191, s[8:9] offset:8            // 00000000A4E0: DD348008 0008BF06
	global_atomic_add_f32 v6, v195, s[8:9] offset:264          // 00000000A4E8: DD348108 0008C306
	s_mov_b64 exec, s[36:37]                                   // 00000000A4F0: BEFE0124
	v_mov_b32_e32 v6, v74                                      // 00000000A4F4: 7E0C034A
	s_mov_b64 s[60:61], 0                                      // 00000000A4F8: BEBC0180
	v_readlane_b32 s82, v3, 20                                 // 00000000A4FC: D2890052 00012903
	s_and_b32 s82, s82, 0xffffff                               // 00000000A504: 8652FF52 00FFFFFF
	s_cmp_lt_u32 s82, s66                                      // 00000000A50C: BF0A4252
	s_cselect_b32 s20, s36, s60                                // 00000000A510: 85143C24
	v_readlane_b32 s82, v3, 21                                 // 00000000A514: D2890052 00012B03
	s_and_b32 s82, s82, 0xffffff                               // 00000000A51C: 8652FF52 00FFFFFF
	s_cmp_lt_u32 s82, s66                                      // 00000000A524: BF0A4252
	s_cselect_b32 s21, s36, s60                                // 00000000A528: 85153C24
	s_mov_b64 exec, s[20:21]                                   // 00000000A52C: BEFE0114
	global_atomic_add_f32 v6, v198, s[8:9] offset:8            // 00000000A530: DD348008 0008C606
	global_atomic_add_f32 v6, v202, s[8:9] offset:264          // 00000000A538: DD348108 0008CA06
	s_mov_b64 exec, s[36:37]                                   // 00000000A540: BEFE0124
	v_mov_b32_e32 v6, v75                                      // 00000000A544: 7E0C034B
	s_mov_b64 s[60:61], 0                                      // 00000000A548: BEBC0180
	v_readlane_b32 s82, v3, 22                                 // 00000000A54C: D2890052 00012D03
	s_and_b32 s82, s82, 0xffffff                               // 00000000A554: 8652FF52 00FFFFFF
	s_cmp_lt_u32 s82, s66                                      // 00000000A55C: BF0A4252
	s_cselect_b32 s20, s36, s60                                // 00000000A560: 85143C24
	v_readlane_b32 s82, v3, 23                                 // 00000000A564: D2890052 00012F03
	s_and_b32 s82, s82, 0xffffff                               // 00000000A56C: 8652FF52 00FFFFFF
	s_cmp_lt_u32 s82, s66                                      // 00000000A574: BF0A4252
	s_cselect_b32 s21, s36, s60                                // 00000000A578: 85153C24
	s_mov_b64 exec, s[20:21]                                   // 00000000A57C: BEFE0114
	global_atomic_add_f32 v6, v199, s[8:9] offset:8            // 00000000A580: DD348008 0008C706
	global_atomic_add_f32 v6, v203, s[8:9] offset:264          // 00000000A588: DD348108 0008CB06
	s_mov_b64 exec, s[36:37]                                   // 00000000A590: BEFE0124
	v_mov_b32_e32 v6, v76                                      // 00000000A594: 7E0C034C
	s_mov_b64 s[60:61], 0                                      // 00000000A598: BEBC0180
	v_readlane_b32 s82, v3, 24                                 // 00000000A59C: D2890052 00013103
	s_and_b32 s82, s82, 0xffffff                               // 00000000A5A4: 8652FF52 00FFFFFF
	s_cmp_lt_u32 s82, s66                                      // 00000000A5AC: BF0A4252
	s_cselect_b32 s20, s36, s60                                // 00000000A5B0: 85143C24
	v_readlane_b32 s82, v3, 25                                 // 00000000A5B4: D2890052 00013303
	s_and_b32 s82, s82, 0xffffff                               // 00000000A5BC: 8652FF52 00FFFFFF
	s_cmp_lt_u32 s82, s66                                      // 00000000A5C4: BF0A4252
	s_cselect_b32 s21, s36, s60                                // 00000000A5C8: 85153C24
	s_mov_b64 exec, s[20:21]                                   // 00000000A5CC: BEFE0114
	global_atomic_add_f32 v6, v206, s[8:9] offset:8            // 00000000A5D0: DD348008 0008CE06
	global_atomic_add_f32 v6, v210, s[8:9] offset:264          // 00000000A5D8: DD348108 0008D206
	s_mov_b64 exec, s[36:37]                                   // 00000000A5E0: BEFE0124
	v_mov_b32_e32 v6, v77                                      // 00000000A5E4: 7E0C034D
	s_mov_b64 s[60:61], 0                                      // 00000000A5E8: BEBC0180
	v_readlane_b32 s82, v3, 26                                 // 00000000A5EC: D2890052 00013503
	s_and_b32 s82, s82, 0xffffff                               // 00000000A5F4: 8652FF52 00FFFFFF
	s_cmp_lt_u32 s82, s66                                      // 00000000A5FC: BF0A4252
	s_cselect_b32 s20, s36, s60                                // 00000000A600: 85143C24
	v_readlane_b32 s82, v3, 27                                 // 00000000A604: D2890052 00013703
	s_and_b32 s82, s82, 0xffffff                               // 00000000A60C: 8652FF52 00FFFFFF
	s_cmp_lt_u32 s82, s66                                      // 00000000A614: BF0A4252
	s_cselect_b32 s21, s36, s60                                // 00000000A618: 85153C24
	s_mov_b64 exec, s[20:21]                                   // 00000000A61C: BEFE0114
	global_atomic_add_f32 v6, v207, s[8:9] offset:8            // 00000000A620: DD348008 0008CF06
	global_atomic_add_f32 v6, v211, s[8:9] offset:264          // 00000000A628: DD348108 0008D306
	s_mov_b64 exec, s[36:37]                                   // 00000000A630: BEFE0124
	v_mov_b32_e32 v6, v78                                      // 00000000A634: 7E0C034E
	s_mov_b64 s[60:61], 0                                      // 00000000A638: BEBC0180
	v_readlane_b32 s82, v3, 28                                 // 00000000A63C: D2890052 00013903
	s_and_b32 s82, s82, 0xffffff                               // 00000000A644: 8652FF52 00FFFFFF
	s_cmp_lt_u32 s82, s66                                      // 00000000A64C: BF0A4252
	s_cselect_b32 s20, s36, s60                                // 00000000A650: 85143C24
	v_readlane_b32 s82, v3, 29                                 // 00000000A654: D2890052 00013B03
	s_and_b32 s82, s82, 0xffffff                               // 00000000A65C: 8652FF52 00FFFFFF
	s_cmp_lt_u32 s82, s66                                      // 00000000A664: BF0A4252
	s_cselect_b32 s21, s36, s60                                // 00000000A668: 85153C24
	s_mov_b64 exec, s[20:21]                                   // 00000000A66C: BEFE0114
	global_atomic_add_f32 v6, v214, s[8:9] offset:8            // 00000000A670: DD348008 0008D606
	global_atomic_add_f32 v6, v218, s[8:9] offset:264          // 00000000A678: DD348108 0008DA06
	s_mov_b64 exec, s[36:37]                                   // 00000000A680: BEFE0124
	v_mov_b32_e32 v6, v79                                      // 00000000A684: 7E0C034F
	s_mov_b64 s[60:61], 0                                      // 00000000A688: BEBC0180
	v_readlane_b32 s82, v3, 30                                 // 00000000A68C: D2890052 00013D03
	s_and_b32 s82, s82, 0xffffff                               // 00000000A694: 8652FF52 00FFFFFF
	s_cmp_lt_u32 s82, s66                                      // 00000000A69C: BF0A4252
	s_cselect_b32 s20, s36, s60                                // 00000000A6A0: 85143C24
	v_readlane_b32 s82, v3, 31                                 // 00000000A6A4: D2890052 00013F03
	s_and_b32 s82, s82, 0xffffff                               // 00000000A6AC: 8652FF52 00FFFFFF
	s_cmp_lt_u32 s82, s66                                      // 00000000A6B4: BF0A4252
	s_cselect_b32 s21, s36, s60                                // 00000000A6B8: 85153C24
	s_mov_b64 exec, s[20:21]                                   // 00000000A6BC: BEFE0114
	global_atomic_add_f32 v6, v215, s[8:9] offset:8            // 00000000A6C0: DD348008 0008D706
	global_atomic_add_f32 v6, v219, s[8:9] offset:264          // 00000000A6C8: DD348108 0008DB06
	s_mov_b64 exec, s[36:37]                                   // 00000000A6D0: BEFE0124
	v_mov_b32_e32 v6, v80                                      // 00000000A6D4: 7E0C0350
	s_mov_b64 s[60:61], 0                                      // 00000000A6D8: BEBC0180
	v_readlane_b32 s82, v3, 32                                 // 00000000A6DC: D2890052 00014103
	s_and_b32 s82, s82, 0xffffff                               // 00000000A6E4: 8652FF52 00FFFFFF
	s_cmp_lt_u32 s82, s66                                      // 00000000A6EC: BF0A4252
	s_cselect_b32 s20, s36, s60                                // 00000000A6F0: 85143C24
	v_readlane_b32 s82, v3, 33                                 // 00000000A6F4: D2890052 00014303
	s_and_b32 s82, s82, 0xffffff                               // 00000000A6FC: 8652FF52 00FFFFFF
	s_cmp_lt_u32 s82, s66                                      // 00000000A704: BF0A4252
	s_cselect_b32 s21, s36, s60                                // 00000000A708: 85153C24
	s_mov_b64 exec, s[20:21]                                   // 00000000A70C: BEFE0114
	global_atomic_add_f32 v6, v222, s[8:9] offset:8            // 00000000A710: DD348008 0008DE06
	global_atomic_add_f32 v6, v226, s[8:9] offset:264          // 00000000A718: DD348108 0008E206
	s_mov_b64 exec, s[36:37]                                   // 00000000A720: BEFE0124
	v_mov_b32_e32 v6, v81                                      // 00000000A724: 7E0C0351
	s_mov_b64 s[60:61], 0                                      // 00000000A728: BEBC0180
	v_readlane_b32 s82, v3, 34                                 // 00000000A72C: D2890052 00014503
	s_and_b32 s82, s82, 0xffffff                               // 00000000A734: 8652FF52 00FFFFFF
	s_cmp_lt_u32 s82, s66                                      // 00000000A73C: BF0A4252
	s_cselect_b32 s20, s36, s60                                // 00000000A740: 85143C24
	v_readlane_b32 s82, v3, 35                                 // 00000000A744: D2890052 00014703
	s_and_b32 s82, s82, 0xffffff                               // 00000000A74C: 8652FF52 00FFFFFF
	s_cmp_lt_u32 s82, s66                                      // 00000000A754: BF0A4252
	s_cselect_b32 s21, s36, s60                                // 00000000A758: 85153C24
	s_mov_b64 exec, s[20:21]                                   // 00000000A75C: BEFE0114
	global_atomic_add_f32 v6, v223, s[8:9] offset:8            // 00000000A760: DD348008 0008DF06
	global_atomic_add_f32 v6, v227, s[8:9] offset:264          // 00000000A768: DD348108 0008E306
	s_mov_b64 exec, s[36:37]                                   // 00000000A770: BEFE0124
	s_branch label_3AC8                                        // 00000000A774: BF821B67

000000000000a778 <label_1F61>:
	s_waitcnt vmcnt(2) lgkmcnt(0)                              // 00000000A778: BF8C0072
	s_barrier                                                  // 00000000A77C: BF8A0000
	v_mov_b32_e32 v55, v37                                     // 00000000A780: 7E6E0325
	v_mov_b32_e32 v56, v38                                     // 00000000A784: 7E700326
	v_mov_b32_e32 v57, v39                                     // 00000000A788: 7E720327
	v_mov_b32_e32 v58, v40                                     // 00000000A78C: 7E740328
	v_mov_b32_e32 v59, v41                                     // 00000000A790: 7E760329
	v_mov_b32_e32 v60, v42                                     // 00000000A794: 7E78032A
	v_mov_b32_e32 v61, v43                                     // 00000000A798: 7E7A032B
	v_mov_b32_e32 v62, v44                                     // 00000000A79C: 7E7C032C
	v_mov_b32_e32 v63, v45                                     // 00000000A7A0: 7E7E032D
	v_mul_f32_dpp v4, v24, v55 row_newbcast:0 row_mask:0xf bank_mask:0xf// 00000000A7A4: 0A086EFA FF015018
	v_mfma_f32_16x16x32_fp8_fp8 v[8:11], a[144:145], a[0:1], 0 // 00000000A7AC: D3F30008 1A020190
	buffer_load_dword v27, v23, s[32:35], 0 offen              // 00000000A7B4: E0501000 80081B17
	buffer_load_dwordx4 a[160:163], v82, s[84:87], 0 offen     // 00000000A7BC: E05C1000 8095A052
	v_mfma_f32_16x16x32_fp8_fp8 v[8:11], a[146:147], a[2:3], v[8:11]// 00000000A7C4: D3F30008 1C220592
	v_mfma_f32_16x16x32_fp8_fp8 v[8:11], a[148:149], a[4:5], v[8:11]// 00000000A7CC: D3F30008 1C220994
	v_mfma_f32_16x16x32_fp8_fp8 v[8:11], a[150:151], a[6:7], v[8:11]// 00000000A7D4: D3F30008 1C220D96
	v_mul_f32_dpp v6, v24, v56 row_newbcast:0 row_mask:0xf bank_mask:0xf// 00000000A7DC: 0A0C70FA FF015018
	v_mfma_f32_16x16x32_fp8_fp8 v[12:15], a[144:145], a[8:9], 0// 00000000A7E4: D3F3000C 1A021190
	buffer_load_dwordx4 a[164:167], v82, s[84:87], 0 offen offset:1024// 00000000A7EC: E05C1400 8095A452
	v_mfma_f32_16x16x32_fp8_fp8 v[12:15], a[146:147], a[10:11], v[12:15]// 00000000A7F4: D3F3000C 1C321592
	v_mfma_f32_16x16x32_fp8_fp8 v[12:15], a[148:149], a[12:13], v[12:15]// 00000000A7FC: D3F3000C 1C321994
	v_mfma_f32_16x16x32_fp8_fp8 v[12:15], a[150:151], a[14:15], v[12:15]// 00000000A804: D3F3000C 1C321D96
	v_fma_f32 v84, v8, v4, v84                                 // 00000000A80C: D1CB0054 05520908
	v_fma_f32 v85, v9, v4, v85                                 // 00000000A814: D1CB0055 05560909
	v_fma_f32 v86, v10, v4, v86                                // 00000000A81C: D1CB0056 055A090A
	v_fma_f32 v87, v11, v4, v87                                // 00000000A824: D1CB0057 055E090B
	v_mul_f32_dpp v4, v24, v57 row_newbcast:0 row_mask:0xf bank_mask:0xf// 00000000A82C: 0A0872FA FF015018
	v_mfma_f32_16x16x32_fp8_fp8 v[8:11], a[144:145], a[16:17], 0// 00000000A834: D3F30008 1A022190
	buffer_load_dwordx4 a[168:171], v83, s[84:87], 0 offen     // 00000000A83C: E05C1000 8095A853
	v_mfma_f32_16x16x32_fp8_fp8 v[8:11], a[146:147], a[18:19], v[8:11]// 00000000A844: D3F30008 1C222592
	v_mfma_f32_16x16x32_fp8_fp8 v[8:11], a[148:149], a[20:21], v[8:11]// 00000000A84C: D3F30008 1C222994
	v_mfma_f32_16x16x32_fp8_fp8 v[8:11], a[150:151], a[22:23], v[8:11]// 00000000A854: D3F30008 1C222D96
	v_fma_f32 v88, v12, v6, v88                                // 00000000A85C: D1CB0058 05620D0C
	v_fma_f32 v89, v13, v6, v89                                // 00000000A864: D1CB0059 05660D0D
	v_fma_f32 v90, v14, v6, v90                                // 00000000A86C: D1CB005A 056A0D0E
	v_fma_f32 v91, v15, v6, v91                                // 00000000A874: D1CB005B 056E0D0F
	v_mul_f32_dpp v6, v24, v58 row_newbcast:0 row_mask:0xf bank_mask:0xf// 00000000A87C: 0A0C74FA FF015018
	v_mfma_f32_16x16x32_fp8_fp8 v[12:15], a[144:145], a[24:25], 0// 00000000A884: D3F3000C 1A023190
	buffer_load_dwordx4 a[172:175], v83, s[84:87], 0 offen offset:1024// 00000000A88C: E05C1400 8095AC53
	buffer_load_dword v64, s[20:23], 0 offen lds               // 00000000A894: E0511000 80050040
	s_add_u32 m0, 0x100, s48                                   // 00000000A89C: 807C30FF 00000100
	v_mfma_f32_16x16x32_fp8_fp8 v[12:15], a[146:147], a[26:27], v[12:15]// 00000000A8A4: D3F3000C 1C323592
	v_mfma_f32_16x16x32_fp8_fp8 v[12:15], a[148:149], a[28:29], v[12:15]// 00000000A8AC: D3F3000C 1C323994
	buffer_load_dword v65, s[20:23], 0 offen lds               // 00000000A8B4: E0511000 80050041
	s_add_u32 m0, 0x200, s48                                   // 00000000A8BC: 807C30FF 00000200
	v_mfma_f32_16x16x32_fp8_fp8 v[12:15], a[150:151], a[30:31], v[12:15]// 00000000A8C4: D3F3000C 1C323D96
	v_fma_f32 v92, v8, v4, v92                                 // 00000000A8CC: D1CB005C 05720908
	v_fma_f32 v93, v9, v4, v93                                 // 00000000A8D4: D1CB005D 05760909
	v_fma_f32 v94, v10, v4, v94                                // 00000000A8DC: D1CB005E 057A090A
	v_fma_f32 v95, v11, v4, v95                                // 00000000A8E4: D1CB005F 057E090B
	v_mul_f32_dpp v4, v24, v59 row_newbcast:0 row_mask:0xf bank_mask:0xf// 00000000A8EC: 0A0876FA FF015018
	v_mfma_f32_16x16x32_fp8_fp8 v[8:11], a[144:145], a[32:33], 0// 00000000A8F4: D3F30008 1A024190
	buffer_load_dword v66, s[20:23], 0 offen lds               // 00000000A8FC: E0511000 80050042
	s_add_u32 m0, 0x300, s48                                   // 00000000A904: 807C30FF 00000300
	v_mfma_f32_16x16x32_fp8_fp8 v[8:11], a[146:147], a[34:35], v[8:11]// 00000000A90C: D3F30008 1C224592
	v_mfma_f32_16x16x32_fp8_fp8 v[8:11], a[148:149], a[36:37], v[8:11]// 00000000A914: D3F30008 1C224994
	buffer_load_dword v67, s[20:23], 0 offen lds               // 00000000A91C: E0511000 80050043
	s_add_u32 m0, 0x400, s48                                   // 00000000A924: 807C30FF 00000400
	v_mfma_f32_16x16x32_fp8_fp8 v[8:11], a[150:151], a[38:39], v[8:11]// 00000000A92C: D3F30008 1C224D96
	v_fma_f32 v96, v12, v6, v96                                // 00000000A934: D1CB0060 05820D0C
	v_fma_f32 v97, v13, v6, v97                                // 00000000A93C: D1CB0061 05860D0D
	v_fma_f32 v98, v14, v6, v98                                // 00000000A944: D1CB0062 058A0D0E
	v_fma_f32 v99, v15, v6, v99                                // 00000000A94C: D1CB0063 058E0D0F
	v_mul_f32_dpp v6, v24, v60 row_newbcast:0 row_mask:0xf bank_mask:0xf// 00000000A954: 0A0C78FA FF015018
	v_mfma_f32_16x16x32_fp8_fp8 v[12:15], a[144:145], a[40:41], 0// 00000000A95C: D3F3000C 1A025190
	buffer_load_dword v68, s[20:23], 0 offen lds               // 00000000A964: E0511000 80050044
	s_add_u32 m0, 0x500, s48                                   // 00000000A96C: 807C30FF 00000500
	v_mfma_f32_16x16x32_fp8_fp8 v[12:15], a[146:147], a[42:43], v[12:15]// 00000000A974: D3F3000C 1C325592
	v_mfma_f32_16x16x32_fp8_fp8 v[12:15], a[148:149], a[44:45], v[12:15]// 00000000A97C: D3F3000C 1C325994
	buffer_load_dword v69, s[20:23], 0 offen lds               // 00000000A984: E0511000 80050045
	s_add_u32 m0, 0x600, s48                                   // 00000000A98C: 807C30FF 00000600
	v_mfma_f32_16x16x32_fp8_fp8 v[12:15], a[150:151], a[46:47], v[12:15]// 00000000A994: D3F3000C 1C325D96
	v_fma_f32 v100, v8, v4, v100                               // 00000000A99C: D1CB0064 05920908
	v_fma_f32 v101, v9, v4, v101                               // 00000000A9A4: D1CB0065 05960909
	v_fma_f32 v102, v10, v4, v102                              // 00000000A9AC: D1CB0066 059A090A
	v_fma_f32 v103, v11, v4, v103                              // 00000000A9B4: D1CB0067 059E090B
	v_mul_f32_dpp v4, v24, v61 row_newbcast:0 row_mask:0xf bank_mask:0xf// 00000000A9BC: 0A087AFA FF015018
	v_mfma_f32_16x16x32_fp8_fp8 v[8:11], a[144:145], a[48:49], 0// 00000000A9C4: D3F30008 1A026190
	buffer_load_dword v70, s[20:23], 0 offen lds               // 00000000A9CC: E0511000 80050046
	s_add_u32 m0, 0x700, s48                                   // 00000000A9D4: 807C30FF 00000700
	v_mfma_f32_16x16x32_fp8_fp8 v[8:11], a[146:147], a[50:51], v[8:11]// 00000000A9DC: D3F30008 1C226592
	v_mfma_f32_16x16x32_fp8_fp8 v[8:11], a[148:149], a[52:53], v[8:11]// 00000000A9E4: D3F30008 1C226994
	buffer_load_dword v71, s[20:23], 0 offen lds               // 00000000A9EC: E0511000 80050047
	s_add_u32 m0, 0x800, s48                                   // 00000000A9F4: 807C30FF 00000800
	v_mfma_f32_16x16x32_fp8_fp8 v[8:11], a[150:151], a[54:55], v[8:11]// 00000000A9FC: D3F30008 1C226D96
	v_fma_f32 v104, v12, v6, v104                              // 00000000AA04: D1CB0068 05A20D0C
	v_fma_f32 v105, v13, v6, v105                              // 00000000AA0C: D1CB0069 05A60D0D
	v_fma_f32 v106, v14, v6, v106                              // 00000000AA14: D1CB006A 05AA0D0E
	v_fma_f32 v107, v15, v6, v107                              // 00000000AA1C: D1CB006B 05AE0D0F
	v_mul_f32_dpp v6, v24, v62 row_newbcast:0 row_mask:0xf bank_mask:0xf// 00000000AA24: 0A0C7CFA FF015018
	v_mfma_f32_16x16x32_fp8_fp8 v[12:15], a[144:145], a[56:57], 0// 00000000AA2C: D3F3000C 1A027190
	buffer_load_dword v72, s[20:23], 0 offen lds               // 00000000AA34: E0511000 80050048
	s_add_u32 m0, 0x900, s48                                   // 00000000AA3C: 807C30FF 00000900
	v_mfma_f32_16x16x32_fp8_fp8 v[12:15], a[146:147], a[58:59], v[12:15]// 00000000AA44: D3F3000C 1C327592
	v_mfma_f32_16x16x32_fp8_fp8 v[12:15], a[148:149], a[60:61], v[12:15]// 00000000AA4C: D3F3000C 1C327994
	buffer_load_dword v73, s[20:23], 0 offen lds               // 00000000AA54: E0511000 80050049
	s_add_u32 m0, 0xa00, s48                                   // 00000000AA5C: 807C30FF 00000A00
	v_mfma_f32_16x16x32_fp8_fp8 v[12:15], a[150:151], a[62:63], v[12:15]// 00000000AA64: D3F3000C 1C327D96
	v_fma_f32 v108, v8, v4, v108                               // 00000000AA6C: D1CB006C 05B20908
	v_fma_f32 v109, v9, v4, v109                               // 00000000AA74: D1CB006D 05B60909
	v_fma_f32 v110, v10, v4, v110                              // 00000000AA7C: D1CB006E 05BA090A
	v_fma_f32 v111, v11, v4, v111                              // 00000000AA84: D1CB006F 05BE090B
	v_mul_f32_dpp v4, v24, v63 row_newbcast:0 row_mask:0xf bank_mask:0xf// 00000000AA8C: 0A087EFA FF015018
	v_mfma_f32_16x16x32_fp8_fp8 v[8:11], a[144:145], a[64:65], 0// 00000000AA94: D3F30008 1A028190
	buffer_load_dword v74, s[20:23], 0 offen lds               // 00000000AA9C: E0511000 8005004A
	s_add_u32 m0, 0xb00, s48                                   // 00000000AAA4: 807C30FF 00000B00
	v_mfma_f32_16x16x32_fp8_fp8 v[8:11], a[146:147], a[66:67], v[8:11]// 00000000AAAC: D3F30008 1C228592
	v_mfma_f32_16x16x32_fp8_fp8 v[8:11], a[148:149], a[68:69], v[8:11]// 00000000AAB4: D3F30008 1C228994
	buffer_load_dword v75, s[20:23], 0 offen lds               // 00000000AABC: E0511000 8005004B
	s_add_u32 m0, 0xc00, s48                                   // 00000000AAC4: 807C30FF 00000C00
	v_mfma_f32_16x16x32_fp8_fp8 v[8:11], a[150:151], a[70:71], v[8:11]// 00000000AACC: D3F30008 1C228D96
	v_fma_f32 v112, v12, v6, v112                              // 00000000AAD4: D1CB0070 05C20D0C
	v_fma_f32 v113, v13, v6, v113                              // 00000000AADC: D1CB0071 05C60D0D
	v_fma_f32 v114, v14, v6, v114                              // 00000000AAE4: D1CB0072 05CA0D0E
	v_fma_f32 v115, v15, v6, v115                              // 00000000AAEC: D1CB0073 05CE0D0F
	s_waitcnt vmcnt(17)                                        // 00000000AAF4: BF8C4F71
	v_mul_f32_dpp v6, v24, v55 row_newbcast:0 row_mask:0xf bank_mask:0xf// 00000000AAF8: 0A0C6EFA FF015018
	v_mfma_f32_16x16x32_fp8_fp8 v[12:15], a[152:153], a[0:1], 0// 00000000AB00: D3F3000C 1A020198
	buffer_load_dword v76, s[20:23], 0 offen lds               // 00000000AB08: E0511000 8005004C
	s_add_u32 m0, 0xd00, s48                                   // 00000000AB10: 807C30FF 00000D00
	v_mfma_f32_16x16x32_fp8_fp8 v[12:15], a[154:155], a[2:3], v[12:15]// 00000000AB18: D3F3000C 1C32059A
	v_mfma_f32_16x16x32_fp8_fp8 v[12:15], a[156:157], a[4:5], v[12:15]// 00000000AB20: D3F3000C 1C32099C
	buffer_load_dword v77, s[20:23], 0 offen lds               // 00000000AB28: E0511000 8005004D
	s_add_u32 m0, 0xe00, s48                                   // 00000000AB30: 807C30FF 00000E00
	v_mfma_f32_16x16x32_fp8_fp8 v[12:15], a[158:159], a[6:7], v[12:15]// 00000000AB38: D3F3000C 1C320D9E
	v_fma_f32 v116, v8, v4, v116                               // 00000000AB40: D1CB0074 05D20908
	v_fma_f32 v117, v9, v4, v117                               // 00000000AB48: D1CB0075 05D60909
	v_fma_f32 v118, v10, v4, v118                              // 00000000AB50: D1CB0076 05DA090A
	v_fma_f32 v119, v11, v4, v119                              // 00000000AB58: D1CB0077 05DE090B
	v_mul_f32_dpp v4, v24, v56 row_newbcast:0 row_mask:0xf bank_mask:0xf// 00000000AB60: 0A0870FA FF015018
	v_mfma_f32_16x16x32_fp8_fp8 v[8:11], a[152:153], a[8:9], 0 // 00000000AB68: D3F30008 1A021198
	buffer_load_dword v78, s[20:23], 0 offen lds               // 00000000AB70: E0511000 8005004E
	s_add_u32 m0, 0xf00, s48                                   // 00000000AB78: 807C30FF 00000F00
	v_mfma_f32_16x16x32_fp8_fp8 v[8:11], a[154:155], a[10:11], v[8:11]// 00000000AB80: D3F30008 1C22159A
	v_mfma_f32_16x16x32_fp8_fp8 v[8:11], a[156:157], a[12:13], v[8:11]// 00000000AB88: D3F30008 1C22199C
	buffer_load_dword v79, s[20:23], 0 offen lds               // 00000000AB90: E0511000 8005004F
	s_add_u32 m0, 0x1000, s48                                  // 00000000AB98: 807C30FF 00001000
	v_mfma_f32_16x16x32_fp8_fp8 v[8:11], a[158:159], a[14:15], v[8:11]// 00000000ABA0: D3F30008 1C221D9E
	v_fma_f32 v120, v12, v6, v120                              // 00000000ABA8: D1CB0078 05E20D0C
	v_fma_f32 v121, v13, v6, v121                              // 00000000ABB0: D1CB0079 05E60D0D
	v_fma_f32 v122, v14, v6, v122                              // 00000000ABB8: D1CB007A 05EA0D0E
	v_fma_f32 v123, v15, v6, v123                              // 00000000ABC0: D1CB007B 05EE0D0F
	v_mul_f32_dpp v6, v24, v57 row_newbcast:0 row_mask:0xf bank_mask:0xf// 00000000ABC8: 0A0C72FA FF015018
	v_mfma_f32_16x16x32_fp8_fp8 v[12:15], a[152:153], a[16:17], 0// 00000000ABD0: D3F3000C 1A022198
	buffer_load_dword v80, s[20:23], 0 offen lds               // 00000000ABD8: E0511000 80050050
	s_add_u32 m0, 0x1100, s48                                  // 00000000ABE0: 807C30FF 00001100
	v_mfma_f32_16x16x32_fp8_fp8 v[12:15], a[154:155], a[18:19], v[12:15]// 00000000ABE8: D3F3000C 1C32259A
	v_mfma_f32_16x16x32_fp8_fp8 v[12:15], a[156:157], a[20:21], v[12:15]// 00000000ABF0: D3F3000C 1C32299C
	buffer_load_dword v81, s[20:23], 0 offen lds               // 00000000ABF8: E0511000 80050051
	s_add_u32 m0, 0, s49                                       // 00000000AC00: 807C3180
	v_mfma_f32_16x16x32_fp8_fp8 v[12:15], a[158:159], a[22:23], v[12:15]// 00000000AC04: D3F3000C 1C322D9E
	v_fma_f32 v124, v8, v4, v124                               // 00000000AC0C: D1CB007C 05F20908
	v_fma_f32 v125, v9, v4, v125                               // 00000000AC14: D1CB007D 05F60909
	v_fma_f32 v126, v10, v4, v126                              // 00000000AC1C: D1CB007E 05FA090A
	v_fma_f32 v127, v11, v4, v127                              // 00000000AC24: D1CB007F 05FE090B
	v_mul_f32_dpp v4, v24, v58 row_newbcast:0 row_mask:0xf bank_mask:0xf// 00000000AC2C: 0A0874FA FF015018
	v_mfma_f32_16x16x32_fp8_fp8 v[8:11], a[152:153], a[24:25], 0// 00000000AC34: D3F30008 1A023198
	buffer_load_dword v37, v28, s[28:31], 0 offen              // 00000000AC3C: E0501000 8007251C
	v_mfma_f32_16x16x32_fp8_fp8 v[8:11], a[154:155], a[26:27], v[8:11]// 00000000AC44: D3F30008 1C22359A
	v_mfma_f32_16x16x32_fp8_fp8 v[8:11], a[156:157], a[28:29], v[8:11]// 00000000AC4C: D3F30008 1C22399C
	buffer_load_dword v38, v29, s[28:31], 0 offen              // 00000000AC54: E0501000 8007261D
	v_mfma_f32_16x16x32_fp8_fp8 v[8:11], a[158:159], a[30:31], v[8:11]// 00000000AC5C: D3F30008 1C223D9E
	v_fma_f32 v128, v12, v6, v128                              // 00000000AC64: D1CB0080 06020D0C
	v_fma_f32 v129, v13, v6, v129                              // 00000000AC6C: D1CB0081 06060D0D
	v_fma_f32 v130, v14, v6, v130                              // 00000000AC74: D1CB0082 060A0D0E
	v_fma_f32 v131, v15, v6, v131                              // 00000000AC7C: D1CB0083 060E0D0F
	v_mul_f32_dpp v6, v24, v59 row_newbcast:0 row_mask:0xf bank_mask:0xf// 00000000AC84: 0A0C76FA FF015018
	v_mfma_f32_16x16x32_fp8_fp8 v[12:15], a[152:153], a[32:33], 0// 00000000AC8C: D3F3000C 1A024198
	buffer_load_dword v39, v30, s[28:31], 0 offen              // 00000000AC94: E0501000 8007271E
	v_mfma_f32_16x16x32_fp8_fp8 v[12:15], a[154:155], a[34:35], v[12:15]// 00000000AC9C: D3F3000C 1C32459A
	v_mfma_f32_16x16x32_fp8_fp8 v[12:15], a[156:157], a[36:37], v[12:15]// 00000000ACA4: D3F3000C 1C32499C
	buffer_load_dword v40, v31, s[28:31], 0 offen              // 00000000ACAC: E0501000 8007281F
	v_mfma_f32_16x16x32_fp8_fp8 v[12:15], a[158:159], a[38:39], v[12:15]// 00000000ACB4: D3F3000C 1C324D9E
	v_fma_f32 v132, v8, v4, v132                               // 00000000ACBC: D1CB0084 06120908
	v_fma_f32 v133, v9, v4, v133                               // 00000000ACC4: D1CB0085 06160909
	v_fma_f32 v134, v10, v4, v134                              // 00000000ACCC: D1CB0086 061A090A
	v_fma_f32 v135, v11, v4, v135                              // 00000000ACD4: D1CB0087 061E090B
	v_mul_f32_dpp v4, v24, v60 row_newbcast:0 row_mask:0xf bank_mask:0xf// 00000000ACDC: 0A0878FA FF015018
	v_mfma_f32_16x16x32_fp8_fp8 v[8:11], a[152:153], a[40:41], 0// 00000000ACE4: D3F30008 1A025198
	buffer_load_dword v41, v32, s[28:31], 0 offen              // 00000000ACEC: E0501000 80072920
	v_mfma_f32_16x16x32_fp8_fp8 v[8:11], a[154:155], a[42:43], v[8:11]// 00000000ACF4: D3F30008 1C22559A
	v_mfma_f32_16x16x32_fp8_fp8 v[8:11], a[156:157], a[44:45], v[8:11]// 00000000ACFC: D3F30008 1C22599C
	buffer_load_dword v42, v33, s[28:31], 0 offen              // 00000000AD04: E0501000 80072A21
	v_mfma_f32_16x16x32_fp8_fp8 v[8:11], a[158:159], a[46:47], v[8:11]// 00000000AD0C: D3F30008 1C225D9E
	v_fma_f32 v136, v12, v6, v136                              // 00000000AD14: D1CB0088 06220D0C
	v_fma_f32 v137, v13, v6, v137                              // 00000000AD1C: D1CB0089 06260D0D
	v_fma_f32 v138, v14, v6, v138                              // 00000000AD24: D1CB008A 062A0D0E
	v_fma_f32 v139, v15, v6, v139                              // 00000000AD2C: D1CB008B 062E0D0F
	v_mul_f32_dpp v6, v24, v61 row_newbcast:0 row_mask:0xf bank_mask:0xf// 00000000AD34: 0A0C7AFA FF015018
	v_mfma_f32_16x16x32_fp8_fp8 v[12:15], a[152:153], a[48:49], 0// 00000000AD3C: D3F3000C 1A026198
	buffer_load_dword v43, v34, s[28:31], 0 offen              // 00000000AD44: E0501000 80072B22
	v_mfma_f32_16x16x32_fp8_fp8 v[12:15], a[154:155], a[50:51], v[12:15]// 00000000AD4C: D3F3000C 1C32659A
	v_mfma_f32_16x16x32_fp8_fp8 v[12:15], a[156:157], a[52:53], v[12:15]// 00000000AD54: D3F3000C 1C32699C
	buffer_load_dword v44, v35, s[28:31], 0 offen              // 00000000AD5C: E0501000 80072C23
	v_mfma_f32_16x16x32_fp8_fp8 v[12:15], a[158:159], a[54:55], v[12:15]// 00000000AD64: D3F3000C 1C326D9E
	v_fma_f32 v140, v8, v4, v140                               // 00000000AD6C: D1CB008C 06320908
	v_fma_f32 v141, v9, v4, v141                               // 00000000AD74: D1CB008D 06360909
	v_fma_f32 v142, v10, v4, v142                              // 00000000AD7C: D1CB008E 063A090A
	v_fma_f32 v143, v11, v4, v143                              // 00000000AD84: D1CB008F 063E090B
	v_mul_f32_dpp v4, v24, v62 row_newbcast:0 row_mask:0xf bank_mask:0xf// 00000000AD8C: 0A087CFA FF015018
	v_mfma_f32_16x16x32_fp8_fp8 v[8:11], a[152:153], a[56:57], 0// 00000000AD94: D3F30008 1A027198
	buffer_load_dword v45, v36, s[28:31], 0 offen              // 00000000AD9C: E0501000 80072D24
	v_mfma_f32_16x16x32_fp8_fp8 v[8:11], a[154:155], a[58:59], v[8:11]// 00000000ADA4: D3F30008 1C22759A
	v_mfma_f32_16x16x32_fp8_fp8 v[8:11], a[156:157], a[60:61], v[8:11]// 00000000ADAC: D3F30008 1C22799C
	v_mfma_f32_16x16x32_fp8_fp8 v[8:11], a[158:159], a[62:63], v[8:11]// 00000000ADB4: D3F30008 1C227D9E
	v_fma_f32 v144, v12, v6, v144                              // 00000000ADBC: D1CB0090 06420D0C
	v_fma_f32 v145, v13, v6, v145                              // 00000000ADC4: D1CB0091 06460D0D
	v_fma_f32 v146, v14, v6, v146                              // 00000000ADCC: D1CB0092 064A0D0E
	v_fma_f32 v147, v15, v6, v147                              // 00000000ADD4: D1CB0093 064E0D0F
	v_mul_f32_dpp v6, v24, v63 row_newbcast:0 row_mask:0xf bank_mask:0xf// 00000000ADDC: 0A0C7EFA FF015018
	v_mfma_f32_16x16x32_fp8_fp8 v[12:15], a[152:153], a[64:65], 0// 00000000ADE4: D3F3000C 1A028198
	v_mfma_f32_16x16x32_fp8_fp8 v[12:15], a[154:155], a[66:67], v[12:15]// 00000000ADEC: D3F3000C 1C32859A
	s_add_u32 s60, 0x80, s80                                   // 00000000ADF4: 803C50FF 00000080
	s_cmp_lt_u32 s60, s81                                      // 00000000ADFC: BF0A513C
	s_cselect_b32 s83, s83, 0                                  // 00000000AE00: 85538053
	s_cselect_b32 s4, s4, 0                                    // 00000000AE04: 85048004
	v_mfma_f32_16x16x32_fp8_fp8 v[12:15], a[156:157], a[68:69], v[12:15]// 00000000AE08: D3F3000C 1C32899C
	s_add_u32 s32, s4, s32                                     // 00000000AE10: 80202004
	s_addc_u32 s33, 0, s33                                     // 00000000AE14: 82212180
	v_mfma_f32_16x16x32_fp8_fp8 v[12:15], a[158:159], a[70:71], v[12:15]// 00000000AE18: D3F3000C 1C328D9E
	v_fma_f32 v148, v8, v4, v148                               // 00000000AE20: D1CB0094 06520908
	v_fma_f32 v149, v9, v4, v149                               // 00000000AE28: D1CB0095 06560909
	v_fma_f32 v150, v10, v4, v150                              // 00000000AE30: D1CB0096 065A090A
	v_fma_f32 v151, v11, v4, v151                              // 00000000AE38: D1CB0097 065E090B
	v_fma_f32 v152, v12, v6, v152                              // 00000000AE40: D1CB0098 06620D0C
	v_fma_f32 v153, v13, v6, v153                              // 00000000AE48: D1CB0099 06660D0D
	v_fma_f32 v154, v14, v6, v154                              // 00000000AE50: D1CB009A 066A0D0E
	v_fma_f32 v155, v15, v6, v155                              // 00000000AE58: D1CB009B 066E0D0F
	s_waitcnt vmcnt(27)                                        // 00000000AE60: BF8C4F7B
	v_mul_f32_dpp v4, v27, v55 row_newbcast:0 row_mask:0xf bank_mask:0xf// 00000000AE64: 0A086EFA FF01501B
	v_mfma_f32_16x16x32_fp8_fp8 v[8:11], a[160:161], a[0:1], 0 // 00000000AE6C: D3F30008 1A0201A0
	buffer_load_dword v24, v22, s[32:35], 0 offen              // 00000000AE74: E0501000 80081816
	buffer_load_dwordx4 a[144:147], v82, s[24:27], 0 offen     // 00000000AE7C: E05C1000 80869052
	v_mfma_f32_16x16x32_fp8_fp8 v[8:11], a[162:163], a[2:3], v[8:11]// 00000000AE84: D3F30008 1C2205A2
	v_mfma_f32_16x16x32_fp8_fp8 v[8:11], a[164:165], a[4:5], v[8:11]// 00000000AE8C: D3F30008 1C2209A4
	ds_read_b128 a[72:75], v2 offset:18560                     // 00000000AE94: DBFE4880 48000002
	ds_read_b128 a[76:79], v2 offset:18624                     // 00000000AE9C: DBFE48C0 4C000002
	v_mfma_f32_16x16x32_fp8_fp8 v[8:11], a[166:167], a[6:7], v[8:11]// 00000000AEA4: D3F30008 1C220DA6
	v_mfma_f32_16x16x32_fp8_fp8 v[12:15], a[168:169], a[0:1], 0// 00000000AEAC: D3F3000C 1A0201A8
	buffer_load_dwordx4 a[148:151], v82, s[24:27], 0 offen offset:1024// 00000000AEB4: E05C1400 80869452
	v_mfma_f32_16x16x32_fp8_fp8 v[12:15], a[170:171], a[2:3], v[12:15]// 00000000AEBC: D3F3000C 1C3205AA
	v_mfma_f32_16x16x32_fp8_fp8 v[12:15], a[172:173], a[4:5], v[12:15]// 00000000AEC4: D3F3000C 1C3209AC
	ds_read_b128 a[80:83], v2 offset:19072                     // 00000000AECC: DBFE4A80 50000002
	ds_read_b128 a[84:87], v2 offset:19136                     // 00000000AED4: DBFE4AC0 54000002
	v_mfma_f32_16x16x32_fp8_fp8 v[12:15], a[174:175], a[6:7], v[12:15]// 00000000AEDC: D3F3000C 1C320DAE
	v_fma_f32 v156, v8, v4, v156                               // 00000000AEE4: D1CB009C 06720908
	v_fma_f32 v157, v9, v4, v157                               // 00000000AEEC: D1CB009D 06760909
	v_fma_f32 v158, v10, v4, v158                              // 00000000AEF4: D1CB009E 067A090A
	v_fma_f32 v159, v11, v4, v159                              // 00000000AEFC: D1CB009F 067E090B
	v_mul_f32_dpp v6, v27, v56 row_newbcast:0 row_mask:0xf bank_mask:0xf// 00000000AF04: 0A0C70FA FF01501B
	v_mfma_f32_16x16x32_fp8_fp8 v[8:11], a[160:161], a[8:9], 0 // 00000000AF0C: D3F30008 1A0211A0
	buffer_load_dwordx4 a[152:155], v83, s[24:27], 0 offen     // 00000000AF14: E05C1000 80869853
	v_mfma_f32_16x16x32_fp8_fp8 v[8:11], a[162:163], a[10:11], v[8:11]// 00000000AF1C: D3F30008 1C2215A2
	v_mfma_f32_16x16x32_fp8_fp8 v[8:11], a[164:165], a[12:13], v[8:11]// 00000000AF24: D3F30008 1C2219A4
	ds_read_b128 a[88:91], v2 offset:19584                     // 00000000AF2C: DBFE4C80 58000002
	ds_read_b128 a[92:95], v2 offset:19648                     // 00000000AF34: DBFE4CC0 5C000002
	v_mfma_f32_16x16x32_fp8_fp8 v[8:11], a[166:167], a[14:15], v[8:11]// 00000000AF3C: D3F30008 1C221DA6
	v_fma_f32 v192, v12, v4, v192                              // 00000000AF44: D1CB00C0 0702090C
	v_fma_f32 v193, v13, v4, v193                              // 00000000AF4C: D1CB00C1 0706090D
	v_fma_f32 v194, v14, v4, v194                              // 00000000AF54: D1CB00C2 070A090E
	v_fma_f32 v195, v15, v4, v195                              // 00000000AF5C: D1CB00C3 070E090F
	v_mfma_f32_16x16x32_fp8_fp8 v[12:15], a[168:169], a[8:9], 0// 00000000AF64: D3F3000C 1A0211A8
	buffer_load_dwordx4 a[156:159], v83, s[24:27], 0 offen offset:1024// 00000000AF6C: E05C1400 80869C53
	v_mfma_f32_16x16x32_fp8_fp8 v[12:15], a[170:171], a[10:11], v[12:15]// 00000000AF74: D3F3000C 1C3215AA
	v_mfma_f32_16x16x32_fp8_fp8 v[12:15], a[172:173], a[12:13], v[12:15]// 00000000AF7C: D3F3000C 1C3219AC
	ds_read_b128 a[96:99], v2 offset:20096                     // 00000000AF84: DBFE4E80 60000002
	ds_read_b128 a[100:103], v2 offset:20160                   // 00000000AF8C: DBFE4EC0 64000002
	v_mfma_f32_16x16x32_fp8_fp8 v[12:15], a[174:175], a[14:15], v[12:15]// 00000000AF94: D3F3000C 1C321DAE
	v_fma_f32 v160, v8, v6, v160                               // 00000000AF9C: D1CB00A0 06820D08
	v_fma_f32 v161, v9, v6, v161                               // 00000000AFA4: D1CB00A1 06860D09
	v_fma_f32 v162, v10, v6, v162                              // 00000000AFAC: D1CB00A2 068A0D0A
	v_fma_f32 v163, v11, v6, v163                              // 00000000AFB4: D1CB00A3 068E0D0B
	v_mul_f32_dpp v4, v27, v57 row_newbcast:0 row_mask:0xf bank_mask:0xf// 00000000AFBC: 0A0872FA FF01501B
	v_mfma_f32_16x16x32_fp8_fp8 v[8:11], a[160:161], a[16:17], 0// 00000000AFC4: D3F30008 1A0221A0
	v_mfma_f32_16x16x32_fp8_fp8 v[8:11], a[162:163], a[18:19], v[8:11]// 00000000AFCC: D3F30008 1C2225A2
	v_mfma_f32_16x16x32_fp8_fp8 v[8:11], a[164:165], a[20:21], v[8:11]// 00000000AFD4: D3F30008 1C2229A4
	ds_read_b128 a[104:107], v2 offset:20608                   // 00000000AFDC: DBFE5080 68000002
	ds_read_b128 a[108:111], v2 offset:20672                   // 00000000AFE4: DBFE50C0 6C000002
	v_mfma_f32_16x16x32_fp8_fp8 v[8:11], a[166:167], a[22:23], v[8:11]// 00000000AFEC: D3F30008 1C222DA6
	v_fma_f32 v196, v12, v6, v196                              // 00000000AFF4: D1CB00C4 07120D0C
	v_fma_f32 v197, v13, v6, v197                              // 00000000AFFC: D1CB00C5 07160D0D
	v_fma_f32 v198, v14, v6, v198                              // 00000000B004: D1CB00C6 071A0D0E
	v_fma_f32 v199, v15, v6, v199                              // 00000000B00C: D1CB00C7 071E0D0F
	v_mfma_f32_16x16x32_fp8_fp8 v[12:15], a[168:169], a[16:17], 0// 00000000B014: D3F3000C 1A0221A8
	v_mfma_f32_16x16x32_fp8_fp8 v[12:15], a[170:171], a[18:19], v[12:15]// 00000000B01C: D3F3000C 1C3225AA
	v_mfma_f32_16x16x32_fp8_fp8 v[12:15], a[172:173], a[20:21], v[12:15]// 00000000B024: D3F3000C 1C3229AC
	ds_read_b128 a[112:115], v2 offset:21120                   // 00000000B02C: DBFE5280 70000002
	ds_read_b128 a[116:119], v2 offset:21184                   // 00000000B034: DBFE52C0 74000002
	v_mfma_f32_16x16x32_fp8_fp8 v[12:15], a[174:175], a[22:23], v[12:15]// 00000000B03C: D3F3000C 1C322DAE
	v_fma_f32 v164, v8, v4, v164                               // 00000000B044: D1CB00A4 06920908
	v_fma_f32 v165, v9, v4, v165                               // 00000000B04C: D1CB00A5 06960909
	v_fma_f32 v166, v10, v4, v166                              // 00000000B054: D1CB00A6 069A090A
	v_fma_f32 v167, v11, v4, v167                              // 00000000B05C: D1CB00A7 069E090B
	v_mul_f32_dpp v6, v27, v58 row_newbcast:0 row_mask:0xf bank_mask:0xf// 00000000B064: 0A0C74FA FF01501B
	v_mfma_f32_16x16x32_fp8_fp8 v[8:11], a[160:161], a[24:25], 0// 00000000B06C: D3F30008 1A0231A0
	v_mfma_f32_16x16x32_fp8_fp8 v[8:11], a[162:163], a[26:27], v[8:11]// 00000000B074: D3F30008 1C2235A2
	v_mfma_f32_16x16x32_fp8_fp8 v[8:11], a[164:165], a[28:29], v[8:11]// 00000000B07C: D3F30008 1C2239A4
	ds_read_b128 a[120:123], v2 offset:21632                   // 00000000B084: DBFE5480 78000002
	ds_read_b128 a[124:127], v2 offset:21696                   // 00000000B08C: DBFE54C0 7C000002
	v_mfma_f32_16x16x32_fp8_fp8 v[8:11], a[166:167], a[30:31], v[8:11]// 00000000B094: D3F30008 1C223DA6
	v_fma_f32 v200, v12, v4, v200                              // 00000000B09C: D1CB00C8 0722090C
	v_fma_f32 v201, v13, v4, v201                              // 00000000B0A4: D1CB00C9 0726090D
	v_fma_f32 v202, v14, v4, v202                              // 00000000B0AC: D1CB00CA 072A090E
	v_fma_f32 v203, v15, v4, v203                              // 00000000B0B4: D1CB00CB 072E090F
	v_mfma_f32_16x16x32_fp8_fp8 v[12:15], a[168:169], a[24:25], 0// 00000000B0BC: D3F3000C 1A0231A8
	v_mfma_f32_16x16x32_fp8_fp8 v[12:15], a[170:171], a[26:27], v[12:15]// 00000000B0C4: D3F3000C 1C3235AA
	v_mfma_f32_16x16x32_fp8_fp8 v[12:15], a[172:173], a[28:29], v[12:15]// 00000000B0CC: D3F3000C 1C3239AC
	ds_read_b128 a[128:131], v2 offset:22144                   // 00000000B0D4: DBFE5680 80000002
	ds_read_b128 a[132:135], v2 offset:22208                   // 00000000B0DC: DBFE56C0 84000002
	v_mfma_f32_16x16x32_fp8_fp8 v[12:15], a[174:175], a[30:31], v[12:15]// 00000000B0E4: D3F3000C 1C323DAE
	v_fma_f32 v168, v8, v6, v168                               // 00000000B0EC: D1CB00A8 06A20D08
	v_fma_f32 v169, v9, v6, v169                               // 00000000B0F4: D1CB00A9 06A60D09
	v_fma_f32 v170, v10, v6, v170                              // 00000000B0FC: D1CB00AA 06AA0D0A
	v_fma_f32 v171, v11, v6, v171                              // 00000000B104: D1CB00AB 06AE0D0B
	v_mul_f32_dpp v4, v27, v59 row_newbcast:0 row_mask:0xf bank_mask:0xf// 00000000B10C: 0A0876FA FF01501B
	v_mfma_f32_16x16x32_fp8_fp8 v[8:11], a[160:161], a[32:33], 0// 00000000B114: D3F30008 1A0241A0
	v_mfma_f32_16x16x32_fp8_fp8 v[8:11], a[162:163], a[34:35], v[8:11]// 00000000B11C: D3F30008 1C2245A2
	v_mfma_f32_16x16x32_fp8_fp8 v[8:11], a[164:165], a[36:37], v[8:11]// 00000000B124: D3F30008 1C2249A4
	ds_read_b128 a[136:139], v2 offset:22656                   // 00000000B12C: DBFE5880 88000002
	ds_read_b128 a[140:143], v2 offset:22720                   // 00000000B134: DBFE58C0 8C000002
	v_mfma_f32_16x16x32_fp8_fp8 v[8:11], a[166:167], a[38:39], v[8:11]// 00000000B13C: D3F30008 1C224DA6
	v_fma_f32 v204, v12, v6, v204                              // 00000000B144: D1CB00CC 07320D0C
	v_fma_f32 v205, v13, v6, v205                              // 00000000B14C: D1CB00CD 07360D0D
	v_fma_f32 v206, v14, v6, v206                              // 00000000B154: D1CB00CE 073A0D0E
	v_fma_f32 v207, v15, v6, v207                              // 00000000B15C: D1CB00CF 073E0D0F
	v_mfma_f32_16x16x32_fp8_fp8 v[12:15], a[168:169], a[32:33], 0// 00000000B164: D3F3000C 1A0241A8
	v_mfma_f32_16x16x32_fp8_fp8 v[12:15], a[170:171], a[34:35], v[12:15]// 00000000B16C: D3F3000C 1C3245AA
	v_mfma_f32_16x16x32_fp8_fp8 v[12:15], a[172:173], a[36:37], v[12:15]// 00000000B174: D3F3000C 1C3249AC
	v_mfma_f32_16x16x32_fp8_fp8 v[12:15], a[174:175], a[38:39], v[12:15]// 00000000B17C: D3F3000C 1C324DAE
	v_fma_f32 v172, v8, v4, v172                               // 00000000B184: D1CB00AC 06B20908
	v_fma_f32 v173, v9, v4, v173                               // 00000000B18C: D1CB00AD 06B60909
	v_fma_f32 v174, v10, v4, v174                              // 00000000B194: D1CB00AE 06BA090A
	v_fma_f32 v175, v11, v4, v175                              // 00000000B19C: D1CB00AF 06BE090B
	v_mul_f32_dpp v6, v27, v60 row_newbcast:0 row_mask:0xf bank_mask:0xf// 00000000B1A4: 0A0C78FA FF01501B
	v_mfma_f32_16x16x32_fp8_fp8 v[8:11], a[160:161], a[40:41], 0// 00000000B1AC: D3F30008 1A0251A0
	v_mfma_f32_16x16x32_fp8_fp8 v[8:11], a[162:163], a[42:43], v[8:11]// 00000000B1B4: D3F30008 1C2255A2
	v_mfma_f32_16x16x32_fp8_fp8 v[8:11], a[164:165], a[44:45], v[8:11]// 00000000B1BC: D3F30008 1C2259A4
	v_mfma_f32_16x16x32_fp8_fp8 v[8:11], a[166:167], a[46:47], v[8:11]// 00000000B1C4: D3F30008 1C225DA6
	v_fma_f32 v208, v12, v4, v208                              // 00000000B1CC: D1CB00D0 0742090C
	v_fma_f32 v209, v13, v4, v209                              // 00000000B1D4: D1CB00D1 0746090D
	v_fma_f32 v210, v14, v4, v210                              // 00000000B1DC: D1CB00D2 074A090E
	v_fma_f32 v211, v15, v4, v211                              // 00000000B1E4: D1CB00D3 074E090F
	v_mfma_f32_16x16x32_fp8_fp8 v[12:15], a[168:169], a[40:41], 0// 00000000B1EC: D3F3000C 1A0251A8
	v_mfma_f32_16x16x32_fp8_fp8 v[12:15], a[170:171], a[42:43], v[12:15]// 00000000B1F4: D3F3000C 1C3255AA
	v_mfma_f32_16x16x32_fp8_fp8 v[12:15], a[172:173], a[44:45], v[12:15]// 00000000B1FC: D3F3000C 1C3259AC
	v_mfma_f32_16x16x32_fp8_fp8 v[12:15], a[174:175], a[46:47], v[12:15]// 00000000B204: D3F3000C 1C325DAE
	v_fma_f32 v176, v8, v6, v176                               // 00000000B20C: D1CB00B0 06C20D08
	v_fma_f32 v177, v9, v6, v177                               // 00000000B214: D1CB00B1 06C60D09
	v_fma_f32 v178, v10, v6, v178                              // 00000000B21C: D1CB00B2 06CA0D0A
	v_fma_f32 v179, v11, v6, v179                              // 00000000B224: D1CB00B3 06CE0D0B
	v_mul_f32_dpp v4, v27, v61 row_newbcast:0 row_mask:0xf bank_mask:0xf// 00000000B22C: 0A087AFA FF01501B
	v_mfma_f32_16x16x32_fp8_fp8 v[8:11], a[160:161], a[48:49], 0// 00000000B234: D3F30008 1A0261A0
	v_mfma_f32_16x16x32_fp8_fp8 v[8:11], a[162:163], a[50:51], v[8:11]// 00000000B23C: D3F30008 1C2265A2
	v_mfma_f32_16x16x32_fp8_fp8 v[8:11], a[164:165], a[52:53], v[8:11]// 00000000B244: D3F30008 1C2269A4
	v_mfma_f32_16x16x32_fp8_fp8 v[8:11], a[166:167], a[54:55], v[8:11]// 00000000B24C: D3F30008 1C226DA6
	v_fma_f32 v212, v12, v6, v212                              // 00000000B254: D1CB00D4 07520D0C
	v_fma_f32 v213, v13, v6, v213                              // 00000000B25C: D1CB00D5 07560D0D
	v_fma_f32 v214, v14, v6, v214                              // 00000000B264: D1CB00D6 075A0D0E
	v_fma_f32 v215, v15, v6, v215                              // 00000000B26C: D1CB00D7 075E0D0F
	v_mfma_f32_16x16x32_fp8_fp8 v[12:15], a[168:169], a[48:49], 0// 00000000B274: D3F3000C 1A0261A8
	v_mfma_f32_16x16x32_fp8_fp8 v[12:15], a[170:171], a[50:51], v[12:15]// 00000000B27C: D3F3000C 1C3265AA
	v_mfma_f32_16x16x32_fp8_fp8 v[12:15], a[172:173], a[52:53], v[12:15]// 00000000B284: D3F3000C 1C3269AC
	v_mfma_f32_16x16x32_fp8_fp8 v[12:15], a[174:175], a[54:55], v[12:15]// 00000000B28C: D3F3000C 1C326DAE
	v_fma_f32 v180, v8, v4, v180                               // 00000000B294: D1CB00B4 06D20908
	v_fma_f32 v181, v9, v4, v181                               // 00000000B29C: D1CB00B5 06D60909
	v_fma_f32 v182, v10, v4, v182                              // 00000000B2A4: D1CB00B6 06DA090A
	v_fma_f32 v183, v11, v4, v183                              // 00000000B2AC: D1CB00B7 06DE090B
	v_mul_f32_dpp v6, v27, v62 row_newbcast:0 row_mask:0xf bank_mask:0xf// 00000000B2B4: 0A0C7CFA FF01501B
	v_mfma_f32_16x16x32_fp8_fp8 v[8:11], a[160:161], a[56:57], 0// 00000000B2BC: D3F30008 1A0271A0
	v_mfma_f32_16x16x32_fp8_fp8 v[8:11], a[162:163], a[58:59], v[8:11]// 00000000B2C4: D3F30008 1C2275A2
	v_mfma_f32_16x16x32_fp8_fp8 v[8:11], a[164:165], a[60:61], v[8:11]// 00000000B2CC: D3F30008 1C2279A4
	v_mfma_f32_16x16x32_fp8_fp8 v[8:11], a[166:167], a[62:63], v[8:11]// 00000000B2D4: D3F30008 1C227DA6
	v_fma_f32 v216, v12, v4, v216                              // 00000000B2DC: D1CB00D8 0762090C
	v_fma_f32 v217, v13, v4, v217                              // 00000000B2E4: D1CB00D9 0766090D
	v_fma_f32 v218, v14, v4, v218                              // 00000000B2EC: D1CB00DA 076A090E
	v_fma_f32 v219, v15, v4, v219                              // 00000000B2F4: D1CB00DB 076E090F
	v_mfma_f32_16x16x32_fp8_fp8 v[12:15], a[168:169], a[56:57], 0// 00000000B2FC: D3F3000C 1A0271A8
	v_mfma_f32_16x16x32_fp8_fp8 v[12:15], a[170:171], a[58:59], v[12:15]// 00000000B304: D3F3000C 1C3275AA
	v_mfma_f32_16x16x32_fp8_fp8 v[12:15], a[172:173], a[60:61], v[12:15]// 00000000B30C: D3F3000C 1C3279AC
	v_mfma_f32_16x16x32_fp8_fp8 v[12:15], a[174:175], a[62:63], v[12:15]// 00000000B314: D3F3000C 1C327DAE
	v_fma_f32 v184, v8, v6, v184                               // 00000000B31C: D1CB00B8 06E20D08
	v_fma_f32 v185, v9, v6, v185                               // 00000000B324: D1CB00B9 06E60D09
	v_fma_f32 v186, v10, v6, v186                              // 00000000B32C: D1CB00BA 06EA0D0A
	v_fma_f32 v187, v11, v6, v187                              // 00000000B334: D1CB00BB 06EE0D0B
	v_mul_f32_dpp v4, v27, v63 row_newbcast:0 row_mask:0xf bank_mask:0xf// 00000000B33C: 0A087EFA FF01501B
	v_mfma_f32_16x16x32_fp8_fp8 v[8:11], a[160:161], a[64:65], 0// 00000000B344: D3F30008 1A0281A0
	v_mfma_f32_16x16x32_fp8_fp8 v[8:11], a[162:163], a[66:67], v[8:11]// 00000000B34C: D3F30008 1C2285A2
	v_mfma_f32_16x16x32_fp8_fp8 v[8:11], a[164:165], a[68:69], v[8:11]// 00000000B354: D3F30008 1C2289A4
	s_add_u32 s60, 0x180, s80                                  // 00000000B35C: 803C50FF 00000180
	s_cmp_lt_u32 s60, s81                                      // 00000000B364: BF0A513C
	s_cselect_b32 s57, s57, 0                                  // 00000000B368: 85398039
	s_cselect_b32 s3, s3, 0                                    // 00000000B36C: 85038003
	v_mfma_f32_16x16x32_fp8_fp8 v[8:11], a[166:167], a[70:71], v[8:11]// 00000000B370: D3F30008 1C228DA6
	s_add_u32 s60, 0x100, s80                                  // 00000000B378: 803C50FF 00000100
	s_cmp_lt_u32 s60, s81                                      // 00000000B380: BF0A513C
	s_cselect_b32 s58, s58, 0                                  // 00000000B384: 853A803A
	v_fma_f32 v220, v12, v6, v220                              // 00000000B388: D1CB00DC 07720D0C
	v_fma_f32 v221, v13, v6, v221                              // 00000000B390: D1CB00DD 07760D0D
	v_fma_f32 v222, v14, v6, v222                              // 00000000B398: D1CB00DE 077A0D0E
	v_fma_f32 v223, v15, v6, v223                              // 00000000B3A0: D1CB00DF 077E0D0F
	v_mfma_f32_16x16x32_fp8_fp8 v[12:15], a[168:169], a[64:65], 0// 00000000B3A8: D3F3000C 1A0281A8
	s_add_u32 s24, s58, s24                                    // 00000000B3B0: 8018183A
	s_addc_u32 s25, 0, s25                                     // 00000000B3B4: 82191980
	v_mfma_f32_16x16x32_fp8_fp8 v[12:15], a[170:171], a[66:67], v[12:15]// 00000000B3B8: D3F3000C 1C3285AA
	s_add_u32 s20, s57, s20                                    // 00000000B3C0: 80141439
	s_addc_u32 s21, 0, s21                                     // 00000000B3C4: 82151580
	s_add_u32 s28, s3, s28                                     // 00000000B3C8: 801C1C03
	s_addc_u32 s29, 0, s29                                     // 00000000B3CC: 821D1D80
	v_mfma_f32_16x16x32_fp8_fp8 v[12:15], a[172:173], a[68:69], v[12:15]// 00000000B3D0: D3F3000C 1C3289AC
	s_add_u32 s84, s83, s84                                    // 00000000B3D8: 80545453
	s_addc_u32 s85, 0, s85                                     // 00000000B3DC: 82555580
	v_mfma_f32_16x16x32_fp8_fp8 v[12:15], a[174:175], a[70:71], v[12:15]// 00000000B3E0: D3F3000C 1C328DAE
	v_fma_f32 v188, v8, v4, v188                               // 00000000B3E8: D1CB00BC 06F20908
	v_fma_f32 v189, v9, v4, v189                               // 00000000B3F0: D1CB00BD 06F60909
	v_fma_f32 v190, v10, v4, v190                              // 00000000B3F8: D1CB00BE 06FA090A
	v_fma_f32 v191, v11, v4, v191                              // 00000000B400: D1CB00BF 06FE090B
	v_fma_f32 v224, v12, v4, v224                              // 00000000B408: D1CB00E0 0782090C
	v_fma_f32 v225, v13, v4, v225                              // 00000000B410: D1CB00E1 0786090D
	v_fma_f32 v226, v14, v4, v226                              // 00000000B418: D1CB00E2 078A090E
	v_fma_f32 v227, v15, v4, v227                              // 00000000B420: D1CB00E3 078E090F
	s_addk_i32 s80, 0x80                                       // 00000000B428: B7500080
	s_cmp_lt_i32 s80, s81                                      // 00000000B42C: BF045150
	s_cbranch_scc0 label_25C0                                  // 00000000B430: BF840330
	s_waitcnt vmcnt(2) lgkmcnt(0)                              // 00000000B434: BF8C0072
	s_barrier                                                  // 00000000B438: BF8A0000
	v_mov_b32_e32 v55, v46                                     // 00000000B43C: 7E6E032E
	v_mov_b32_e32 v56, v47                                     // 00000000B440: 7E70032F
	v_mov_b32_e32 v57, v48                                     // 00000000B444: 7E720330
	v_mov_b32_e32 v58, v49                                     // 00000000B448: 7E740331
	v_mov_b32_e32 v59, v50                                     // 00000000B44C: 7E760332
	v_mov_b32_e32 v60, v51                                     // 00000000B450: 7E780333
	v_mov_b32_e32 v61, v52                                     // 00000000B454: 7E7A0334
	v_mov_b32_e32 v62, v53                                     // 00000000B458: 7E7C0335
	v_mov_b32_e32 v63, v54                                     // 00000000B45C: 7E7E0336
	v_mul_f32_dpp v4, v24, v55 row_newbcast:0 row_mask:0xf bank_mask:0xf// 00000000B460: 0A086EFA FF015018
	v_mfma_f32_16x16x32_fp8_fp8 v[8:11], a[144:145], a[72:73], 0// 00000000B468: D3F30008 1A029190
	buffer_load_dword v27, v23, s[32:35], 0 offen              // 00000000B470: E0501000 80081B17
	buffer_load_dwordx4 a[160:163], v82, s[84:87], 0 offen     // 00000000B478: E05C1000 8095A052
	v_mfma_f32_16x16x32_fp8_fp8 v[8:11], a[146:147], a[74:75], v[8:11]// 00000000B480: D3F30008 1C229592
	v_mfma_f32_16x16x32_fp8_fp8 v[8:11], a[148:149], a[76:77], v[8:11]// 00000000B488: D3F30008 1C229994
	v_mfma_f32_16x16x32_fp8_fp8 v[8:11], a[150:151], a[78:79], v[8:11]// 00000000B490: D3F30008 1C229D96
	v_mul_f32_dpp v6, v24, v56 row_newbcast:0 row_mask:0xf bank_mask:0xf// 00000000B498: 0A0C70FA FF015018
	v_mfma_f32_16x16x32_fp8_fp8 v[12:15], a[144:145], a[80:81], 0// 00000000B4A0: D3F3000C 1A02A190
	buffer_load_dwordx4 a[164:167], v82, s[84:87], 0 offen offset:1024// 00000000B4A8: E05C1400 8095A452
	v_mfma_f32_16x16x32_fp8_fp8 v[12:15], a[146:147], a[82:83], v[12:15]// 00000000B4B0: D3F3000C 1C32A592
	v_mfma_f32_16x16x32_fp8_fp8 v[12:15], a[148:149], a[84:85], v[12:15]// 00000000B4B8: D3F3000C 1C32A994
	v_mfma_f32_16x16x32_fp8_fp8 v[12:15], a[150:151], a[86:87], v[12:15]// 00000000B4C0: D3F3000C 1C32AD96
	v_fma_f32 v84, v8, v4, v84                                 // 00000000B4C8: D1CB0054 05520908
	v_fma_f32 v85, v9, v4, v85                                 // 00000000B4D0: D1CB0055 05560909
	v_fma_f32 v86, v10, v4, v86                                // 00000000B4D8: D1CB0056 055A090A
	v_fma_f32 v87, v11, v4, v87                                // 00000000B4E0: D1CB0057 055E090B
	v_mul_f32_dpp v4, v24, v57 row_newbcast:0 row_mask:0xf bank_mask:0xf// 00000000B4E8: 0A0872FA FF015018
	v_mfma_f32_16x16x32_fp8_fp8 v[8:11], a[144:145], a[88:89], 0// 00000000B4F0: D3F30008 1A02B190
	buffer_load_dwordx4 a[168:171], v83, s[84:87], 0 offen     // 00000000B4F8: E05C1000 8095A853
	v_mfma_f32_16x16x32_fp8_fp8 v[8:11], a[146:147], a[90:91], v[8:11]// 00000000B500: D3F30008 1C22B592
	v_mfma_f32_16x16x32_fp8_fp8 v[8:11], a[148:149], a[92:93], v[8:11]// 00000000B508: D3F30008 1C22B994
	v_mfma_f32_16x16x32_fp8_fp8 v[8:11], a[150:151], a[94:95], v[8:11]// 00000000B510: D3F30008 1C22BD96
	v_fma_f32 v88, v12, v6, v88                                // 00000000B518: D1CB0058 05620D0C
	v_fma_f32 v89, v13, v6, v89                                // 00000000B520: D1CB0059 05660D0D
	v_fma_f32 v90, v14, v6, v90                                // 00000000B528: D1CB005A 056A0D0E
	v_fma_f32 v91, v15, v6, v91                                // 00000000B530: D1CB005B 056E0D0F
	v_mul_f32_dpp v6, v24, v58 row_newbcast:0 row_mask:0xf bank_mask:0xf// 00000000B538: 0A0C74FA FF015018
	v_mfma_f32_16x16x32_fp8_fp8 v[12:15], a[144:145], a[96:97], 0// 00000000B540: D3F3000C 1A02C190
	buffer_load_dwordx4 a[172:175], v83, s[84:87], 0 offen offset:1024// 00000000B548: E05C1400 8095AC53
	buffer_load_dword v64, s[20:23], 0 offen lds               // 00000000B550: E0511000 80050040
	s_add_u32 m0, 0x100, s49                                   // 00000000B558: 807C31FF 00000100
	v_mfma_f32_16x16x32_fp8_fp8 v[12:15], a[146:147], a[98:99], v[12:15]// 00000000B560: D3F3000C 1C32C592
	v_mfma_f32_16x16x32_fp8_fp8 v[12:15], a[148:149], a[100:101], v[12:15]// 00000000B568: D3F3000C 1C32C994
	buffer_load_dword v65, s[20:23], 0 offen lds               // 00000000B570: E0511000 80050041
	s_add_u32 m0, 0x200, s49                                   // 00000000B578: 807C31FF 00000200
	v_mfma_f32_16x16x32_fp8_fp8 v[12:15], a[150:151], a[102:103], v[12:15]// 00000000B580: D3F3000C 1C32CD96
	v_fma_f32 v92, v8, v4, v92                                 // 00000000B588: D1CB005C 05720908
	v_fma_f32 v93, v9, v4, v93                                 // 00000000B590: D1CB005D 05760909
	v_fma_f32 v94, v10, v4, v94                                // 00000000B598: D1CB005E 057A090A
	v_fma_f32 v95, v11, v4, v95                                // 00000000B5A0: D1CB005F 057E090B
	v_mul_f32_dpp v4, v24, v59 row_newbcast:0 row_mask:0xf bank_mask:0xf// 00000000B5A8: 0A0876FA FF015018
	v_mfma_f32_16x16x32_fp8_fp8 v[8:11], a[144:145], a[104:105], 0// 00000000B5B0: D3F30008 1A02D190
	buffer_load_dword v66, s[20:23], 0 offen lds               // 00000000B5B8: E0511000 80050042
	s_add_u32 m0, 0x300, s49                                   // 00000000B5C0: 807C31FF 00000300
	v_mfma_f32_16x16x32_fp8_fp8 v[8:11], a[146:147], a[106:107], v[8:11]// 00000000B5C8: D3F30008 1C22D592
	v_mfma_f32_16x16x32_fp8_fp8 v[8:11], a[148:149], a[108:109], v[8:11]// 00000000B5D0: D3F30008 1C22D994
	buffer_load_dword v67, s[20:23], 0 offen lds               // 00000000B5D8: E0511000 80050043
	s_add_u32 m0, 0x400, s49                                   // 00000000B5E0: 807C31FF 00000400
	v_mfma_f32_16x16x32_fp8_fp8 v[8:11], a[150:151], a[110:111], v[8:11]// 00000000B5E8: D3F30008 1C22DD96
	v_fma_f32 v96, v12, v6, v96                                // 00000000B5F0: D1CB0060 05820D0C
	v_fma_f32 v97, v13, v6, v97                                // 00000000B5F8: D1CB0061 05860D0D
	v_fma_f32 v98, v14, v6, v98                                // 00000000B600: D1CB0062 058A0D0E
	v_fma_f32 v99, v15, v6, v99                                // 00000000B608: D1CB0063 058E0D0F
	v_mul_f32_dpp v6, v24, v60 row_newbcast:0 row_mask:0xf bank_mask:0xf// 00000000B610: 0A0C78FA FF015018
	v_mfma_f32_16x16x32_fp8_fp8 v[12:15], a[144:145], a[112:113], 0// 00000000B618: D3F3000C 1A02E190
	buffer_load_dword v68, s[20:23], 0 offen lds               // 00000000B620: E0511000 80050044
	s_add_u32 m0, 0x500, s49                                   // 00000000B628: 807C31FF 00000500
	v_mfma_f32_16x16x32_fp8_fp8 v[12:15], a[146:147], a[114:115], v[12:15]// 00000000B630: D3F3000C 1C32E592
	v_mfma_f32_16x16x32_fp8_fp8 v[12:15], a[148:149], a[116:117], v[12:15]// 00000000B638: D3F3000C 1C32E994
	buffer_load_dword v69, s[20:23], 0 offen lds               // 00000000B640: E0511000 80050045
	s_add_u32 m0, 0x600, s49                                   // 00000000B648: 807C31FF 00000600
	v_mfma_f32_16x16x32_fp8_fp8 v[12:15], a[150:151], a[118:119], v[12:15]// 00000000B650: D3F3000C 1C32ED96
	v_fma_f32 v100, v8, v4, v100                               // 00000000B658: D1CB0064 05920908
	v_fma_f32 v101, v9, v4, v101                               // 00000000B660: D1CB0065 05960909
	v_fma_f32 v102, v10, v4, v102                              // 00000000B668: D1CB0066 059A090A
	v_fma_f32 v103, v11, v4, v103                              // 00000000B670: D1CB0067 059E090B
	v_mul_f32_dpp v4, v24, v61 row_newbcast:0 row_mask:0xf bank_mask:0xf// 00000000B678: 0A087AFA FF015018
	v_mfma_f32_16x16x32_fp8_fp8 v[8:11], a[144:145], a[120:121], 0// 00000000B680: D3F30008 1A02F190
	buffer_load_dword v70, s[20:23], 0 offen lds               // 00000000B688: E0511000 80050046
	s_add_u32 m0, 0x700, s49                                   // 00000000B690: 807C31FF 00000700
	v_mfma_f32_16x16x32_fp8_fp8 v[8:11], a[146:147], a[122:123], v[8:11]// 00000000B698: D3F30008 1C22F592
	v_mfma_f32_16x16x32_fp8_fp8 v[8:11], a[148:149], a[124:125], v[8:11]// 00000000B6A0: D3F30008 1C22F994
	buffer_load_dword v71, s[20:23], 0 offen lds               // 00000000B6A8: E0511000 80050047
	s_add_u32 m0, 0x800, s49                                   // 00000000B6B0: 807C31FF 00000800
	v_mfma_f32_16x16x32_fp8_fp8 v[8:11], a[150:151], a[126:127], v[8:11]// 00000000B6B8: D3F30008 1C22FD96
	v_fma_f32 v104, v12, v6, v104                              // 00000000B6C0: D1CB0068 05A20D0C
	v_fma_f32 v105, v13, v6, v105                              // 00000000B6C8: D1CB0069 05A60D0D
	v_fma_f32 v106, v14, v6, v106                              // 00000000B6D0: D1CB006A 05AA0D0E
	v_fma_f32 v107, v15, v6, v107                              // 00000000B6D8: D1CB006B 05AE0D0F
	v_mul_f32_dpp v6, v24, v62 row_newbcast:0 row_mask:0xf bank_mask:0xf// 00000000B6E0: 0A0C7CFA FF015018
	v_mfma_f32_16x16x32_fp8_fp8 v[12:15], a[144:145], a[128:129], 0// 00000000B6E8: D3F3000C 1A030190
	buffer_load_dword v72, s[20:23], 0 offen lds               // 00000000B6F0: E0511000 80050048
	s_add_u32 m0, 0x900, s49                                   // 00000000B6F8: 807C31FF 00000900
	v_mfma_f32_16x16x32_fp8_fp8 v[12:15], a[146:147], a[130:131], v[12:15]// 00000000B700: D3F3000C 1C330592
	v_mfma_f32_16x16x32_fp8_fp8 v[12:15], a[148:149], a[132:133], v[12:15]// 00000000B708: D3F3000C 1C330994
	buffer_load_dword v73, s[20:23], 0 offen lds               // 00000000B710: E0511000 80050049
	s_add_u32 m0, 0xa00, s49                                   // 00000000B718: 807C31FF 00000A00
	v_mfma_f32_16x16x32_fp8_fp8 v[12:15], a[150:151], a[134:135], v[12:15]// 00000000B720: D3F3000C 1C330D96
	v_fma_f32 v108, v8, v4, v108                               // 00000000B728: D1CB006C 05B20908
	v_fma_f32 v109, v9, v4, v109                               // 00000000B730: D1CB006D 05B60909
	v_fma_f32 v110, v10, v4, v110                              // 00000000B738: D1CB006E 05BA090A
	v_fma_f32 v111, v11, v4, v111                              // 00000000B740: D1CB006F 05BE090B
	v_mul_f32_dpp v4, v24, v63 row_newbcast:0 row_mask:0xf bank_mask:0xf// 00000000B748: 0A087EFA FF015018
	v_mfma_f32_16x16x32_fp8_fp8 v[8:11], a[144:145], a[136:137], 0// 00000000B750: D3F30008 1A031190
	buffer_load_dword v74, s[20:23], 0 offen lds               // 00000000B758: E0511000 8005004A
	s_add_u32 m0, 0xb00, s49                                   // 00000000B760: 807C31FF 00000B00
	v_mfma_f32_16x16x32_fp8_fp8 v[8:11], a[146:147], a[138:139], v[8:11]// 00000000B768: D3F30008 1C231592
	v_mfma_f32_16x16x32_fp8_fp8 v[8:11], a[148:149], a[140:141], v[8:11]// 00000000B770: D3F30008 1C231994
	buffer_load_dword v75, s[20:23], 0 offen lds               // 00000000B778: E0511000 8005004B
	s_add_u32 m0, 0xc00, s49                                   // 00000000B780: 807C31FF 00000C00
	v_mfma_f32_16x16x32_fp8_fp8 v[8:11], a[150:151], a[142:143], v[8:11]// 00000000B788: D3F30008 1C231D96
	v_fma_f32 v112, v12, v6, v112                              // 00000000B790: D1CB0070 05C20D0C
	v_fma_f32 v113, v13, v6, v113                              // 00000000B798: D1CB0071 05C60D0D
	v_fma_f32 v114, v14, v6, v114                              // 00000000B7A0: D1CB0072 05CA0D0E
	v_fma_f32 v115, v15, v6, v115                              // 00000000B7A8: D1CB0073 05CE0D0F
	s_waitcnt vmcnt(17)                                        // 00000000B7B0: BF8C4F71
	v_mul_f32_dpp v6, v24, v55 row_newbcast:0 row_mask:0xf bank_mask:0xf// 00000000B7B4: 0A0C6EFA FF015018
	v_mfma_f32_16x16x32_fp8_fp8 v[12:15], a[152:153], a[72:73], 0// 00000000B7BC: D3F3000C 1A029198
	buffer_load_dword v76, s[20:23], 0 offen lds               // 00000000B7C4: E0511000 8005004C
	s_add_u32 m0, 0xd00, s49                                   // 00000000B7CC: 807C31FF 00000D00
	v_mfma_f32_16x16x32_fp8_fp8 v[12:15], a[154:155], a[74:75], v[12:15]// 00000000B7D4: D3F3000C 1C32959A
	v_mfma_f32_16x16x32_fp8_fp8 v[12:15], a[156:157], a[76:77], v[12:15]// 00000000B7DC: D3F3000C 1C32999C
	buffer_load_dword v77, s[20:23], 0 offen lds               // 00000000B7E4: E0511000 8005004D
	s_add_u32 m0, 0xe00, s49                                   // 00000000B7EC: 807C31FF 00000E00
	v_mfma_f32_16x16x32_fp8_fp8 v[12:15], a[158:159], a[78:79], v[12:15]// 00000000B7F4: D3F3000C 1C329D9E
	v_fma_f32 v116, v8, v4, v116                               // 00000000B7FC: D1CB0074 05D20908
	v_fma_f32 v117, v9, v4, v117                               // 00000000B804: D1CB0075 05D60909
	v_fma_f32 v118, v10, v4, v118                              // 00000000B80C: D1CB0076 05DA090A
	v_fma_f32 v119, v11, v4, v119                              // 00000000B814: D1CB0077 05DE090B
	v_mul_f32_dpp v4, v24, v56 row_newbcast:0 row_mask:0xf bank_mask:0xf// 00000000B81C: 0A0870FA FF015018
	v_mfma_f32_16x16x32_fp8_fp8 v[8:11], a[152:153], a[80:81], 0// 00000000B824: D3F30008 1A02A198
	buffer_load_dword v78, s[20:23], 0 offen lds               // 00000000B82C: E0511000 8005004E
	s_add_u32 m0, 0xf00, s49                                   // 00000000B834: 807C31FF 00000F00
	v_mfma_f32_16x16x32_fp8_fp8 v[8:11], a[154:155], a[82:83], v[8:11]// 00000000B83C: D3F30008 1C22A59A
	v_mfma_f32_16x16x32_fp8_fp8 v[8:11], a[156:157], a[84:85], v[8:11]// 00000000B844: D3F30008 1C22A99C
	buffer_load_dword v79, s[20:23], 0 offen lds               // 00000000B84C: E0511000 8005004F
	s_add_u32 m0, 0x1000, s49                                  // 00000000B854: 807C31FF 00001000
	v_mfma_f32_16x16x32_fp8_fp8 v[8:11], a[158:159], a[86:87], v[8:11]// 00000000B85C: D3F30008 1C22AD9E
	v_fma_f32 v120, v12, v6, v120                              // 00000000B864: D1CB0078 05E20D0C
	v_fma_f32 v121, v13, v6, v121                              // 00000000B86C: D1CB0079 05E60D0D
	v_fma_f32 v122, v14, v6, v122                              // 00000000B874: D1CB007A 05EA0D0E
	v_fma_f32 v123, v15, v6, v123                              // 00000000B87C: D1CB007B 05EE0D0F
	v_mul_f32_dpp v6, v24, v57 row_newbcast:0 row_mask:0xf bank_mask:0xf// 00000000B884: 0A0C72FA FF015018
	v_mfma_f32_16x16x32_fp8_fp8 v[12:15], a[152:153], a[88:89], 0// 00000000B88C: D3F3000C 1A02B198
	buffer_load_dword v80, s[20:23], 0 offen lds               // 00000000B894: E0511000 80050050
	s_add_u32 m0, 0x1100, s49                                  // 00000000B89C: 807C31FF 00001100
	v_mfma_f32_16x16x32_fp8_fp8 v[12:15], a[154:155], a[90:91], v[12:15]// 00000000B8A4: D3F3000C 1C32B59A
	v_mfma_f32_16x16x32_fp8_fp8 v[12:15], a[156:157], a[92:93], v[12:15]// 00000000B8AC: D3F3000C 1C32B99C
	buffer_load_dword v81, s[20:23], 0 offen lds               // 00000000B8B4: E0511000 80050051
	s_add_u32 m0, 0, s48                                       // 00000000B8BC: 807C3080
	v_mfma_f32_16x16x32_fp8_fp8 v[12:15], a[158:159], a[94:95], v[12:15]// 00000000B8C0: D3F3000C 1C32BD9E
	v_fma_f32 v124, v8, v4, v124                               // 00000000B8C8: D1CB007C 05F20908
	v_fma_f32 v125, v9, v4, v125                               // 00000000B8D0: D1CB007D 05F60909
	v_fma_f32 v126, v10, v4, v126                              // 00000000B8D8: D1CB007E 05FA090A
	v_fma_f32 v127, v11, v4, v127                              // 00000000B8E0: D1CB007F 05FE090B
	v_mul_f32_dpp v4, v24, v58 row_newbcast:0 row_mask:0xf bank_mask:0xf// 00000000B8E8: 0A0874FA FF015018
	v_mfma_f32_16x16x32_fp8_fp8 v[8:11], a[152:153], a[96:97], 0// 00000000B8F0: D3F30008 1A02C198
	buffer_load_dword v46, v28, s[28:31], 0 offen              // 00000000B8F8: E0501000 80072E1C
	v_mfma_f32_16x16x32_fp8_fp8 v[8:11], a[154:155], a[98:99], v[8:11]// 00000000B900: D3F30008 1C22C59A
	v_mfma_f32_16x16x32_fp8_fp8 v[8:11], a[156:157], a[100:101], v[8:11]// 00000000B908: D3F30008 1C22C99C
	buffer_load_dword v47, v29, s[28:31], 0 offen              // 00000000B910: E0501000 80072F1D
	v_mfma_f32_16x16x32_fp8_fp8 v[8:11], a[158:159], a[102:103], v[8:11]// 00000000B918: D3F30008 1C22CD9E
	v_fma_f32 v128, v12, v6, v128                              // 00000000B920: D1CB0080 06020D0C
	v_fma_f32 v129, v13, v6, v129                              // 00000000B928: D1CB0081 06060D0D
	v_fma_f32 v130, v14, v6, v130                              // 00000000B930: D1CB0082 060A0D0E
	v_fma_f32 v131, v15, v6, v131                              // 00000000B938: D1CB0083 060E0D0F
	v_mul_f32_dpp v6, v24, v59 row_newbcast:0 row_mask:0xf bank_mask:0xf// 00000000B940: 0A0C76FA FF015018
	v_mfma_f32_16x16x32_fp8_fp8 v[12:15], a[152:153], a[104:105], 0// 00000000B948: D3F3000C 1A02D198
	buffer_load_dword v48, v30, s[28:31], 0 offen              // 00000000B950: E0501000 8007301E
	v_mfma_f32_16x16x32_fp8_fp8 v[12:15], a[154:155], a[106:107], v[12:15]// 00000000B958: D3F3000C 1C32D59A
	v_mfma_f32_16x16x32_fp8_fp8 v[12:15], a[156:157], a[108:109], v[12:15]// 00000000B960: D3F3000C 1C32D99C
	buffer_load_dword v49, v31, s[28:31], 0 offen              // 00000000B968: E0501000 8007311F
	v_mfma_f32_16x16x32_fp8_fp8 v[12:15], a[158:159], a[110:111], v[12:15]// 00000000B970: D3F3000C 1C32DD9E
	v_fma_f32 v132, v8, v4, v132                               // 00000000B978: D1CB0084 06120908
	v_fma_f32 v133, v9, v4, v133                               // 00000000B980: D1CB0085 06160909
	v_fma_f32 v134, v10, v4, v134                              // 00000000B988: D1CB0086 061A090A
	v_fma_f32 v135, v11, v4, v135                              // 00000000B990: D1CB0087 061E090B
	v_mul_f32_dpp v4, v24, v60 row_newbcast:0 row_mask:0xf bank_mask:0xf// 00000000B998: 0A0878FA FF015018
	v_mfma_f32_16x16x32_fp8_fp8 v[8:11], a[152:153], a[112:113], 0// 00000000B9A0: D3F30008 1A02E198
	buffer_load_dword v50, v32, s[28:31], 0 offen              // 00000000B9A8: E0501000 80073220
	v_mfma_f32_16x16x32_fp8_fp8 v[8:11], a[154:155], a[114:115], v[8:11]// 00000000B9B0: D3F30008 1C22E59A
	v_mfma_f32_16x16x32_fp8_fp8 v[8:11], a[156:157], a[116:117], v[8:11]// 00000000B9B8: D3F30008 1C22E99C
	buffer_load_dword v51, v33, s[28:31], 0 offen              // 00000000B9C0: E0501000 80073321
	v_mfma_f32_16x16x32_fp8_fp8 v[8:11], a[158:159], a[118:119], v[8:11]// 00000000B9C8: D3F30008 1C22ED9E
	v_fma_f32 v136, v12, v6, v136                              // 00000000B9D0: D1CB0088 06220D0C
	v_fma_f32 v137, v13, v6, v137                              // 00000000B9D8: D1CB0089 06260D0D
	v_fma_f32 v138, v14, v6, v138                              // 00000000B9E0: D1CB008A 062A0D0E
	v_fma_f32 v139, v15, v6, v139                              // 00000000B9E8: D1CB008B 062E0D0F
	v_mul_f32_dpp v6, v24, v61 row_newbcast:0 row_mask:0xf bank_mask:0xf// 00000000B9F0: 0A0C7AFA FF015018
	v_mfma_f32_16x16x32_fp8_fp8 v[12:15], a[152:153], a[120:121], 0// 00000000B9F8: D3F3000C 1A02F198
	buffer_load_dword v52, v34, s[28:31], 0 offen              // 00000000BA00: E0501000 80073422
	v_mfma_f32_16x16x32_fp8_fp8 v[12:15], a[154:155], a[122:123], v[12:15]// 00000000BA08: D3F3000C 1C32F59A
	v_mfma_f32_16x16x32_fp8_fp8 v[12:15], a[156:157], a[124:125], v[12:15]// 00000000BA10: D3F3000C 1C32F99C
	buffer_load_dword v53, v35, s[28:31], 0 offen              // 00000000BA18: E0501000 80073523
	v_mfma_f32_16x16x32_fp8_fp8 v[12:15], a[158:159], a[126:127], v[12:15]// 00000000BA20: D3F3000C 1C32FD9E
	v_fma_f32 v140, v8, v4, v140                               // 00000000BA28: D1CB008C 06320908
	v_fma_f32 v141, v9, v4, v141                               // 00000000BA30: D1CB008D 06360909
	v_fma_f32 v142, v10, v4, v142                              // 00000000BA38: D1CB008E 063A090A
	v_fma_f32 v143, v11, v4, v143                              // 00000000BA40: D1CB008F 063E090B
	v_mul_f32_dpp v4, v24, v62 row_newbcast:0 row_mask:0xf bank_mask:0xf// 00000000BA48: 0A087CFA FF015018
	v_mfma_f32_16x16x32_fp8_fp8 v[8:11], a[152:153], a[128:129], 0// 00000000BA50: D3F30008 1A030198
	buffer_load_dword v54, v36, s[28:31], 0 offen              // 00000000BA58: E0501000 80073624
	v_mfma_f32_16x16x32_fp8_fp8 v[8:11], a[154:155], a[130:131], v[8:11]// 00000000BA60: D3F30008 1C23059A
	v_mfma_f32_16x16x32_fp8_fp8 v[8:11], a[156:157], a[132:133], v[8:11]// 00000000BA68: D3F30008 1C23099C
	v_mfma_f32_16x16x32_fp8_fp8 v[8:11], a[158:159], a[134:135], v[8:11]// 00000000BA70: D3F30008 1C230D9E
	v_fma_f32 v144, v12, v6, v144                              // 00000000BA78: D1CB0090 06420D0C
	v_fma_f32 v145, v13, v6, v145                              // 00000000BA80: D1CB0091 06460D0D
	v_fma_f32 v146, v14, v6, v146                              // 00000000BA88: D1CB0092 064A0D0E
	v_fma_f32 v147, v15, v6, v147                              // 00000000BA90: D1CB0093 064E0D0F
	v_mul_f32_dpp v6, v24, v63 row_newbcast:0 row_mask:0xf bank_mask:0xf// 00000000BA98: 0A0C7EFA FF015018
	v_mfma_f32_16x16x32_fp8_fp8 v[12:15], a[152:153], a[136:137], 0// 00000000BAA0: D3F3000C 1A031198
	v_mfma_f32_16x16x32_fp8_fp8 v[12:15], a[154:155], a[138:139], v[12:15]// 00000000BAA8: D3F3000C 1C33159A
	s_add_u32 s60, 0x80, s80                                   // 00000000BAB0: 803C50FF 00000080
	s_cmp_lt_u32 s60, s81                                      // 00000000BAB8: BF0A513C
	s_cselect_b32 s83, s83, 0                                  // 00000000BABC: 85538053
	s_cselect_b32 s4, s4, 0                                    // 00000000BAC0: 85048004
	v_mfma_f32_16x16x32_fp8_fp8 v[12:15], a[156:157], a[140:141], v[12:15]// 00000000BAC4: D3F3000C 1C33199C
	s_add_u32 s32, s4, s32                                     // 00000000BACC: 80202004
	s_addc_u32 s33, 0, s33                                     // 00000000BAD0: 82212180
	v_mfma_f32_16x16x32_fp8_fp8 v[12:15], a[158:159], a[142:143], v[12:15]// 00000000BAD4: D3F3000C 1C331D9E
	v_fma_f32 v148, v8, v4, v148                               // 00000000BADC: D1CB0094 06520908
	v_fma_f32 v149, v9, v4, v149                               // 00000000BAE4: D1CB0095 06560909
	v_fma_f32 v150, v10, v4, v150                              // 00000000BAEC: D1CB0096 065A090A
	v_fma_f32 v151, v11, v4, v151                              // 00000000BAF4: D1CB0097 065E090B
	v_fma_f32 v152, v12, v6, v152                              // 00000000BAFC: D1CB0098 06620D0C
	v_fma_f32 v153, v13, v6, v153                              // 00000000BB04: D1CB0099 06660D0D
	v_fma_f32 v154, v14, v6, v154                              // 00000000BB0C: D1CB009A 066A0D0E
	v_fma_f32 v155, v15, v6, v155                              // 00000000BB14: D1CB009B 066E0D0F
	s_waitcnt vmcnt(27)                                        // 00000000BB1C: BF8C4F7B
	v_mul_f32_dpp v4, v27, v55 row_newbcast:0 row_mask:0xf bank_mask:0xf// 00000000BB20: 0A086EFA FF01501B
	v_mfma_f32_16x16x32_fp8_fp8 v[8:11], a[160:161], a[72:73], 0// 00000000BB28: D3F30008 1A0291A0
	buffer_load_dword v24, v22, s[32:35], 0 offen              // 00000000BB30: E0501000 80081816
	buffer_load_dwordx4 a[144:147], v82, s[24:27], 0 offen     // 00000000BB38: E05C1000 80869052
	v_mfma_f32_16x16x32_fp8_fp8 v[8:11], a[162:163], a[74:75], v[8:11]// 00000000BB40: D3F30008 1C2295A2
	v_mfma_f32_16x16x32_fp8_fp8 v[8:11], a[164:165], a[76:77], v[8:11]// 00000000BB48: D3F30008 1C2299A4
	ds_read_b128 a[0:3], v2                                    // 00000000BB50: DBFE0000 00000002
	ds_read_b128 a[4:7], v2 offset:64                          // 00000000BB58: DBFE0040 04000002
	v_mfma_f32_16x16x32_fp8_fp8 v[8:11], a[166:167], a[78:79], v[8:11]// 00000000BB60: D3F30008 1C229DA6
	v_mfma_f32_16x16x32_fp8_fp8 v[12:15], a[168:169], a[72:73], 0// 00000000BB68: D3F3000C 1A0291A8
	buffer_load_dwordx4 a[148:151], v82, s[24:27], 0 offen offset:1024// 00000000BB70: E05C1400 80869452
	v_mfma_f32_16x16x32_fp8_fp8 v[12:15], a[170:171], a[74:75], v[12:15]// 00000000BB78: D3F3000C 1C3295AA
	v_mfma_f32_16x16x32_fp8_fp8 v[12:15], a[172:173], a[76:77], v[12:15]// 00000000BB80: D3F3000C 1C3299AC
	ds_read_b128 a[8:11], v2 offset:512                        // 00000000BB88: DBFE0200 08000002
	ds_read_b128 a[12:15], v2 offset:576                       // 00000000BB90: DBFE0240 0C000002
	v_mfma_f32_16x16x32_fp8_fp8 v[12:15], a[174:175], a[78:79], v[12:15]// 00000000BB98: D3F3000C 1C329DAE
	v_fma_f32 v156, v8, v4, v156                               // 00000000BBA0: D1CB009C 06720908
	v_fma_f32 v157, v9, v4, v157                               // 00000000BBA8: D1CB009D 06760909
	v_fma_f32 v158, v10, v4, v158                              // 00000000BBB0: D1CB009E 067A090A
	v_fma_f32 v159, v11, v4, v159                              // 00000000BBB8: D1CB009F 067E090B
	v_mul_f32_dpp v6, v27, v56 row_newbcast:0 row_mask:0xf bank_mask:0xf// 00000000BBC0: 0A0C70FA FF01501B
	v_mfma_f32_16x16x32_fp8_fp8 v[8:11], a[160:161], a[80:81], 0// 00000000BBC8: D3F30008 1A02A1A0
	buffer_load_dwordx4 a[152:155], v83, s[24:27], 0 offen     // 00000000BBD0: E05C1000 80869853
	v_mfma_f32_16x16x32_fp8_fp8 v[8:11], a[162:163], a[82:83], v[8:11]// 00000000BBD8: D3F30008 1C22A5A2
	v_mfma_f32_16x16x32_fp8_fp8 v[8:11], a[164:165], a[84:85], v[8:11]// 00000000BBE0: D3F30008 1C22A9A4
	ds_read_b128 a[16:19], v2 offset:1024                      // 00000000BBE8: DBFE0400 10000002
	ds_read_b128 a[20:23], v2 offset:1088                      // 00000000BBF0: DBFE0440 14000002
	v_mfma_f32_16x16x32_fp8_fp8 v[8:11], a[166:167], a[86:87], v[8:11]// 00000000BBF8: D3F30008 1C22ADA6
	v_fma_f32 v192, v12, v4, v192                              // 00000000BC00: D1CB00C0 0702090C
	v_fma_f32 v193, v13, v4, v193                              // 00000000BC08: D1CB00C1 0706090D
	v_fma_f32 v194, v14, v4, v194                              // 00000000BC10: D1CB00C2 070A090E
	v_fma_f32 v195, v15, v4, v195                              // 00000000BC18: D1CB00C3 070E090F
	v_mfma_f32_16x16x32_fp8_fp8 v[12:15], a[168:169], a[80:81], 0// 00000000BC20: D3F3000C 1A02A1A8
	buffer_load_dwordx4 a[156:159], v83, s[24:27], 0 offen offset:1024// 00000000BC28: E05C1400 80869C53
	v_mfma_f32_16x16x32_fp8_fp8 v[12:15], a[170:171], a[82:83], v[12:15]// 00000000BC30: D3F3000C 1C32A5AA
	v_mfma_f32_16x16x32_fp8_fp8 v[12:15], a[172:173], a[84:85], v[12:15]// 00000000BC38: D3F3000C 1C32A9AC
	ds_read_b128 a[24:27], v2 offset:1536                      // 00000000BC40: DBFE0600 18000002
	ds_read_b128 a[28:31], v2 offset:1600                      // 00000000BC48: DBFE0640 1C000002
	v_mfma_f32_16x16x32_fp8_fp8 v[12:15], a[174:175], a[86:87], v[12:15]// 00000000BC50: D3F3000C 1C32ADAE
	v_fma_f32 v160, v8, v6, v160                               // 00000000BC58: D1CB00A0 06820D08
	v_fma_f32 v161, v9, v6, v161                               // 00000000BC60: D1CB00A1 06860D09
	v_fma_f32 v162, v10, v6, v162                              // 00000000BC68: D1CB00A2 068A0D0A
	v_fma_f32 v163, v11, v6, v163                              // 00000000BC70: D1CB00A3 068E0D0B
	v_mul_f32_dpp v4, v27, v57 row_newbcast:0 row_mask:0xf bank_mask:0xf// 00000000BC78: 0A0872FA FF01501B
	v_mfma_f32_16x16x32_fp8_fp8 v[8:11], a[160:161], a[88:89], 0// 00000000BC80: D3F30008 1A02B1A0
	v_mfma_f32_16x16x32_fp8_fp8 v[8:11], a[162:163], a[90:91], v[8:11]// 00000000BC88: D3F30008 1C22B5A2
	v_mfma_f32_16x16x32_fp8_fp8 v[8:11], a[164:165], a[92:93], v[8:11]// 00000000BC90: D3F30008 1C22B9A4
	ds_read_b128 a[32:35], v2 offset:2048                      // 00000000BC98: DBFE0800 20000002
	ds_read_b128 a[36:39], v2 offset:2112                      // 00000000BCA0: DBFE0840 24000002
	v_mfma_f32_16x16x32_fp8_fp8 v[8:11], a[166:167], a[94:95], v[8:11]// 00000000BCA8: D3F30008 1C22BDA6
	v_fma_f32 v196, v12, v6, v196                              // 00000000BCB0: D1CB00C4 07120D0C
	v_fma_f32 v197, v13, v6, v197                              // 00000000BCB8: D1CB00C5 07160D0D
	v_fma_f32 v198, v14, v6, v198                              // 00000000BCC0: D1CB00C6 071A0D0E
	v_fma_f32 v199, v15, v6, v199                              // 00000000BCC8: D1CB00C7 071E0D0F
	v_mfma_f32_16x16x32_fp8_fp8 v[12:15], a[168:169], a[88:89], 0// 00000000BCD0: D3F3000C 1A02B1A8
	v_mfma_f32_16x16x32_fp8_fp8 v[12:15], a[170:171], a[90:91], v[12:15]// 00000000BCD8: D3F3000C 1C32B5AA
	v_mfma_f32_16x16x32_fp8_fp8 v[12:15], a[172:173], a[92:93], v[12:15]// 00000000BCE0: D3F3000C 1C32B9AC
	ds_read_b128 a[40:43], v2 offset:2560                      // 00000000BCE8: DBFE0A00 28000002
	ds_read_b128 a[44:47], v2 offset:2624                      // 00000000BCF0: DBFE0A40 2C000002
	v_mfma_f32_16x16x32_fp8_fp8 v[12:15], a[174:175], a[94:95], v[12:15]// 00000000BCF8: D3F3000C 1C32BDAE
	v_fma_f32 v164, v8, v4, v164                               // 00000000BD00: D1CB00A4 06920908
	v_fma_f32 v165, v9, v4, v165                               // 00000000BD08: D1CB00A5 06960909
	v_fma_f32 v166, v10, v4, v166                              // 00000000BD10: D1CB00A6 069A090A
	v_fma_f32 v167, v11, v4, v167                              // 00000000BD18: D1CB00A7 069E090B
	v_mul_f32_dpp v6, v27, v58 row_newbcast:0 row_mask:0xf bank_mask:0xf// 00000000BD20: 0A0C74FA FF01501B
	v_mfma_f32_16x16x32_fp8_fp8 v[8:11], a[160:161], a[96:97], 0// 00000000BD28: D3F30008 1A02C1A0
	v_mfma_f32_16x16x32_fp8_fp8 v[8:11], a[162:163], a[98:99], v[8:11]// 00000000BD30: D3F30008 1C22C5A2
	v_mfma_f32_16x16x32_fp8_fp8 v[8:11], a[164:165], a[100:101], v[8:11]// 00000000BD38: D3F30008 1C22C9A4
	ds_read_b128 a[48:51], v2 offset:3072                      // 00000000BD40: DBFE0C00 30000002
	ds_read_b128 a[52:55], v2 offset:3136                      // 00000000BD48: DBFE0C40 34000002
	v_mfma_f32_16x16x32_fp8_fp8 v[8:11], a[166:167], a[102:103], v[8:11]// 00000000BD50: D3F30008 1C22CDA6
	v_fma_f32 v200, v12, v4, v200                              // 00000000BD58: D1CB00C8 0722090C
	v_fma_f32 v201, v13, v4, v201                              // 00000000BD60: D1CB00C9 0726090D
	v_fma_f32 v202, v14, v4, v202                              // 00000000BD68: D1CB00CA 072A090E
	v_fma_f32 v203, v15, v4, v203                              // 00000000BD70: D1CB00CB 072E090F
	v_mfma_f32_16x16x32_fp8_fp8 v[12:15], a[168:169], a[96:97], 0// 00000000BD78: D3F3000C 1A02C1A8
	v_mfma_f32_16x16x32_fp8_fp8 v[12:15], a[170:171], a[98:99], v[12:15]// 00000000BD80: D3F3000C 1C32C5AA
	v_mfma_f32_16x16x32_fp8_fp8 v[12:15], a[172:173], a[100:101], v[12:15]// 00000000BD88: D3F3000C 1C32C9AC
	ds_read_b128 a[56:59], v2 offset:3584                      // 00000000BD90: DBFE0E00 38000002
	ds_read_b128 a[60:63], v2 offset:3648                      // 00000000BD98: DBFE0E40 3C000002
	v_mfma_f32_16x16x32_fp8_fp8 v[12:15], a[174:175], a[102:103], v[12:15]// 00000000BDA0: D3F3000C 1C32CDAE
	v_fma_f32 v168, v8, v6, v168                               // 00000000BDA8: D1CB00A8 06A20D08
	v_fma_f32 v169, v9, v6, v169                               // 00000000BDB0: D1CB00A9 06A60D09
	v_fma_f32 v170, v10, v6, v170                              // 00000000BDB8: D1CB00AA 06AA0D0A
	v_fma_f32 v171, v11, v6, v171                              // 00000000BDC0: D1CB00AB 06AE0D0B
	v_mul_f32_dpp v4, v27, v59 row_newbcast:0 row_mask:0xf bank_mask:0xf// 00000000BDC8: 0A0876FA FF01501B
	v_mfma_f32_16x16x32_fp8_fp8 v[8:11], a[160:161], a[104:105], 0// 00000000BDD0: D3F30008 1A02D1A0
	v_mfma_f32_16x16x32_fp8_fp8 v[8:11], a[162:163], a[106:107], v[8:11]// 00000000BDD8: D3F30008 1C22D5A2
	v_mfma_f32_16x16x32_fp8_fp8 v[8:11], a[164:165], a[108:109], v[8:11]// 00000000BDE0: D3F30008 1C22D9A4
	ds_read_b128 a[64:67], v2 offset:4096                      // 00000000BDE8: DBFE1000 40000002
	ds_read_b128 a[68:71], v2 offset:4160                      // 00000000BDF0: DBFE1040 44000002
	v_mfma_f32_16x16x32_fp8_fp8 v[8:11], a[166:167], a[110:111], v[8:11]// 00000000BDF8: D3F30008 1C22DDA6
	v_fma_f32 v204, v12, v6, v204                              // 00000000BE00: D1CB00CC 07320D0C
	v_fma_f32 v205, v13, v6, v205                              // 00000000BE08: D1CB00CD 07360D0D
	v_fma_f32 v206, v14, v6, v206                              // 00000000BE10: D1CB00CE 073A0D0E
	v_fma_f32 v207, v15, v6, v207                              // 00000000BE18: D1CB00CF 073E0D0F
	v_mfma_f32_16x16x32_fp8_fp8 v[12:15], a[168:169], a[104:105], 0// 00000000BE20: D3F3000C 1A02D1A8
	v_mfma_f32_16x16x32_fp8_fp8 v[12:15], a[170:171], a[106:107], v[12:15]// 00000000BE28: D3F3000C 1C32D5AA
	v_mfma_f32_16x16x32_fp8_fp8 v[12:15], a[172:173], a[108:109], v[12:15]// 00000000BE30: D3F3000C 1C32D9AC
	v_mfma_f32_16x16x32_fp8_fp8 v[12:15], a[174:175], a[110:111], v[12:15]// 00000000BE38: D3F3000C 1C32DDAE
	v_fma_f32 v172, v8, v4, v172                               // 00000000BE40: D1CB00AC 06B20908
	v_fma_f32 v173, v9, v4, v173                               // 00000000BE48: D1CB00AD 06B60909
	v_fma_f32 v174, v10, v4, v174                              // 00000000BE50: D1CB00AE 06BA090A
	v_fma_f32 v175, v11, v4, v175                              // 00000000BE58: D1CB00AF 06BE090B
	v_mul_f32_dpp v6, v27, v60 row_newbcast:0 row_mask:0xf bank_mask:0xf// 00000000BE60: 0A0C78FA FF01501B
	v_mfma_f32_16x16x32_fp8_fp8 v[8:11], a[160:161], a[112:113], 0// 00000000BE68: D3F30008 1A02E1A0
	v_mfma_f32_16x16x32_fp8_fp8 v[8:11], a[162:163], a[114:115], v[8:11]// 00000000BE70: D3F30008 1C22E5A2
	v_mfma_f32_16x16x32_fp8_fp8 v[8:11], a[164:165], a[116:117], v[8:11]// 00000000BE78: D3F30008 1C22E9A4
	v_mfma_f32_16x16x32_fp8_fp8 v[8:11], a[166:167], a[118:119], v[8:11]// 00000000BE80: D3F30008 1C22EDA6
	v_fma_f32 v208, v12, v4, v208                              // 00000000BE88: D1CB00D0 0742090C
	v_fma_f32 v209, v13, v4, v209                              // 00000000BE90: D1CB00D1 0746090D
	v_fma_f32 v210, v14, v4, v210                              // 00000000BE98: D1CB00D2 074A090E
	v_fma_f32 v211, v15, v4, v211                              // 00000000BEA0: D1CB00D3 074E090F
	v_mfma_f32_16x16x32_fp8_fp8 v[12:15], a[168:169], a[112:113], 0// 00000000BEA8: D3F3000C 1A02E1A8
	v_mfma_f32_16x16x32_fp8_fp8 v[12:15], a[170:171], a[114:115], v[12:15]// 00000000BEB0: D3F3000C 1C32E5AA
	v_mfma_f32_16x16x32_fp8_fp8 v[12:15], a[172:173], a[116:117], v[12:15]// 00000000BEB8: D3F3000C 1C32E9AC
	v_mfma_f32_16x16x32_fp8_fp8 v[12:15], a[174:175], a[118:119], v[12:15]// 00000000BEC0: D3F3000C 1C32EDAE
	v_fma_f32 v176, v8, v6, v176                               // 00000000BEC8: D1CB00B0 06C20D08
	v_fma_f32 v177, v9, v6, v177                               // 00000000BED0: D1CB00B1 06C60D09
	v_fma_f32 v178, v10, v6, v178                              // 00000000BED8: D1CB00B2 06CA0D0A
	v_fma_f32 v179, v11, v6, v179                              // 00000000BEE0: D1CB00B3 06CE0D0B
	v_mul_f32_dpp v4, v27, v61 row_newbcast:0 row_mask:0xf bank_mask:0xf// 00000000BEE8: 0A087AFA FF01501B
	v_mfma_f32_16x16x32_fp8_fp8 v[8:11], a[160:161], a[120:121], 0// 00000000BEF0: D3F30008 1A02F1A0
	v_mfma_f32_16x16x32_fp8_fp8 v[8:11], a[162:163], a[122:123], v[8:11]// 00000000BEF8: D3F30008 1C22F5A2
	v_mfma_f32_16x16x32_fp8_fp8 v[8:11], a[164:165], a[124:125], v[8:11]// 00000000BF00: D3F30008 1C22F9A4
	v_mfma_f32_16x16x32_fp8_fp8 v[8:11], a[166:167], a[126:127], v[8:11]// 00000000BF08: D3F30008 1C22FDA6
	v_fma_f32 v212, v12, v6, v212                              // 00000000BF10: D1CB00D4 07520D0C
	v_fma_f32 v213, v13, v6, v213                              // 00000000BF18: D1CB00D5 07560D0D
	v_fma_f32 v214, v14, v6, v214                              // 00000000BF20: D1CB00D6 075A0D0E
	v_fma_f32 v215, v15, v6, v215                              // 00000000BF28: D1CB00D7 075E0D0F
	v_mfma_f32_16x16x32_fp8_fp8 v[12:15], a[168:169], a[120:121], 0// 00000000BF30: D3F3000C 1A02F1A8
	v_mfma_f32_16x16x32_fp8_fp8 v[12:15], a[170:171], a[122:123], v[12:15]// 00000000BF38: D3F3000C 1C32F5AA
	v_mfma_f32_16x16x32_fp8_fp8 v[12:15], a[172:173], a[124:125], v[12:15]// 00000000BF40: D3F3000C 1C32F9AC
	v_mfma_f32_16x16x32_fp8_fp8 v[12:15], a[174:175], a[126:127], v[12:15]// 00000000BF48: D3F3000C 1C32FDAE
	v_fma_f32 v180, v8, v4, v180                               // 00000000BF50: D1CB00B4 06D20908
	v_fma_f32 v181, v9, v4, v181                               // 00000000BF58: D1CB00B5 06D60909
	v_fma_f32 v182, v10, v4, v182                              // 00000000BF60: D1CB00B6 06DA090A
	v_fma_f32 v183, v11, v4, v183                              // 00000000BF68: D1CB00B7 06DE090B
	v_mul_f32_dpp v6, v27, v62 row_newbcast:0 row_mask:0xf bank_mask:0xf// 00000000BF70: 0A0C7CFA FF01501B
	v_mfma_f32_16x16x32_fp8_fp8 v[8:11], a[160:161], a[128:129], 0// 00000000BF78: D3F30008 1A0301A0
	v_mfma_f32_16x16x32_fp8_fp8 v[8:11], a[162:163], a[130:131], v[8:11]// 00000000BF80: D3F30008 1C2305A2
	v_mfma_f32_16x16x32_fp8_fp8 v[8:11], a[164:165], a[132:133], v[8:11]// 00000000BF88: D3F30008 1C2309A4
	v_mfma_f32_16x16x32_fp8_fp8 v[8:11], a[166:167], a[134:135], v[8:11]// 00000000BF90: D3F30008 1C230DA6
	v_fma_f32 v216, v12, v4, v216                              // 00000000BF98: D1CB00D8 0762090C
	v_fma_f32 v217, v13, v4, v217                              // 00000000BFA0: D1CB00D9 0766090D
	v_fma_f32 v218, v14, v4, v218                              // 00000000BFA8: D1CB00DA 076A090E
	v_fma_f32 v219, v15, v4, v219                              // 00000000BFB0: D1CB00DB 076E090F
	v_mfma_f32_16x16x32_fp8_fp8 v[12:15], a[168:169], a[128:129], 0// 00000000BFB8: D3F3000C 1A0301A8
	v_mfma_f32_16x16x32_fp8_fp8 v[12:15], a[170:171], a[130:131], v[12:15]// 00000000BFC0: D3F3000C 1C3305AA
	v_mfma_f32_16x16x32_fp8_fp8 v[12:15], a[172:173], a[132:133], v[12:15]// 00000000BFC8: D3F3000C 1C3309AC
	v_mfma_f32_16x16x32_fp8_fp8 v[12:15], a[174:175], a[134:135], v[12:15]// 00000000BFD0: D3F3000C 1C330DAE
	v_fma_f32 v184, v8, v6, v184                               // 00000000BFD8: D1CB00B8 06E20D08
	v_fma_f32 v185, v9, v6, v185                               // 00000000BFE0: D1CB00B9 06E60D09
	v_fma_f32 v186, v10, v6, v186                              // 00000000BFE8: D1CB00BA 06EA0D0A
	v_fma_f32 v187, v11, v6, v187                              // 00000000BFF0: D1CB00BB 06EE0D0B
	v_mul_f32_dpp v4, v27, v63 row_newbcast:0 row_mask:0xf bank_mask:0xf// 00000000BFF8: 0A087EFA FF01501B
	v_mfma_f32_16x16x32_fp8_fp8 v[8:11], a[160:161], a[136:137], 0// 00000000C000: D3F30008 1A0311A0
	v_mfma_f32_16x16x32_fp8_fp8 v[8:11], a[162:163], a[138:139], v[8:11]// 00000000C008: D3F30008 1C2315A2
	v_mfma_f32_16x16x32_fp8_fp8 v[8:11], a[164:165], a[140:141], v[8:11]// 00000000C010: D3F30008 1C2319A4
	s_add_u32 s60, 0x180, s80                                  // 00000000C018: 803C50FF 00000180
	s_cmp_lt_u32 s60, s81                                      // 00000000C020: BF0A513C
	s_cselect_b32 s57, s57, 0                                  // 00000000C024: 85398039
	s_cselect_b32 s3, s3, 0                                    // 00000000C028: 85038003
	v_mfma_f32_16x16x32_fp8_fp8 v[8:11], a[166:167], a[142:143], v[8:11]// 00000000C02C: D3F30008 1C231DA6
	s_add_u32 s60, 0x100, s80                                  // 00000000C034: 803C50FF 00000100
	s_cmp_lt_u32 s60, s81                                      // 00000000C03C: BF0A513C
	s_cselect_b32 s58, s58, 0                                  // 00000000C040: 853A803A
	v_fma_f32 v220, v12, v6, v220                              // 00000000C044: D1CB00DC 07720D0C
	v_fma_f32 v221, v13, v6, v221                              // 00000000C04C: D1CB00DD 07760D0D
	v_fma_f32 v222, v14, v6, v222                              // 00000000C054: D1CB00DE 077A0D0E
	v_fma_f32 v223, v15, v6, v223                              // 00000000C05C: D1CB00DF 077E0D0F
	v_mfma_f32_16x16x32_fp8_fp8 v[12:15], a[168:169], a[136:137], 0// 00000000C064: D3F3000C 1A0311A8
	s_add_u32 s24, s58, s24                                    // 00000000C06C: 8018183A
	s_addc_u32 s25, 0, s25                                     // 00000000C070: 82191980
	v_mfma_f32_16x16x32_fp8_fp8 v[12:15], a[170:171], a[138:139], v[12:15]// 00000000C074: D3F3000C 1C3315AA
	s_add_u32 s20, s57, s20                                    // 00000000C07C: 80141439
	s_addc_u32 s21, 0, s21                                     // 00000000C080: 82151580
	s_add_u32 s28, s3, s28                                     // 00000000C084: 801C1C03
	s_addc_u32 s29, 0, s29                                     // 00000000C088: 821D1D80
	v_mfma_f32_16x16x32_fp8_fp8 v[12:15], a[172:173], a[140:141], v[12:15]// 00000000C08C: D3F3000C 1C3319AC
	s_add_u32 s84, s83, s84                                    // 00000000C094: 80545453
	s_addc_u32 s85, 0, s85                                     // 00000000C098: 82555580
	v_mfma_f32_16x16x32_fp8_fp8 v[12:15], a[174:175], a[142:143], v[12:15]// 00000000C09C: D3F3000C 1C331DAE
	v_fma_f32 v188, v8, v4, v188                               // 00000000C0A4: D1CB00BC 06F20908
	v_fma_f32 v189, v9, v4, v189                               // 00000000C0AC: D1CB00BD 06F60909
	v_fma_f32 v190, v10, v4, v190                              // 00000000C0B4: D1CB00BE 06FA090A
	v_fma_f32 v191, v11, v4, v191                              // 00000000C0BC: D1CB00BF 06FE090B
	v_fma_f32 v224, v12, v4, v224                              // 00000000C0C4: D1CB00E0 0782090C
	v_fma_f32 v225, v13, v4, v225                              // 00000000C0CC: D1CB00E1 0786090D
	v_fma_f32 v226, v14, v4, v226                              // 00000000C0D4: D1CB00E2 078A090E
	v_fma_f32 v227, v15, v4, v227                              // 00000000C0DC: D1CB00E3 078E090F
	s_addk_i32 s80, 0x80                                       // 00000000C0E4: B7500080
	s_cmp_lt_i32 s80, s81                                      // 00000000C0E8: BF045150
	s_cbranch_scc0 label_25C0                                  // 00000000C0EC: BF840001
	s_branch label_1F61                                        // 00000000C0F0: BF82F9A1

000000000000c0f4 <label_25C0>:
	s_cmp_eq_u32 s88, 0                                        // 00000000C0F4: BF068058
	s_cbranch_scc0 label_31C2                                  // 00000000C0F8: BF840C00
	s_cmp_eq_u32 s89, 0                                        // 00000000C0FC: BF068059
	s_cbranch_scc1 label_2899                                  // 00000000C100: BF8502D5
	v_mov_b32_e32 v8, v1                                       // 00000000C104: 7E100301
	v_mov_b32_e32 v9, v1                                       // 00000000C108: 7E120301
	s_mov_b32 s60, s6                                          // 00000000C10C: BEBC0006
	s_mov_b32 s61, s6                                          // 00000000C110: BEBD0006
	v_pk_mul_f32 v[4:5], v[84:85], v[84:85]                    // 00000000C114: D3B14004 1802A954
	v_pk_mul_f32 v[6:7], v[86:87], v[86:87]                    // 00000000C11C: D3B14006 1802AD56
	v_pk_fma_f32 v[4:5], v[4:5], s[78:79], v[8:9]              // 00000000C124: D3B04004 1C209D04
	v_pk_fma_f32 v[6:7], v[6:7], s[78:79], v[8:9]              // 00000000C12C: D3B04006 1C209D06
	v_pk_mul_f32 v[4:5], v[4:5], v[84:85]                      // 00000000C134: D3B14004 1802A904
	v_pk_mul_f32 v[6:7], v[6:7], v[86:87]                      // 00000000C13C: D3B14006 1802AD06
	v_pk_mul_f32 v[4:5], v[4:5], s[60:61]                      // 00000000C144: D3B14004 18007904
	v_pk_mul_f32 v[6:7], v[6:7], s[60:61]                      // 00000000C14C: D3B14006 18007906
	v_exp_f32_e32 v4, v4                                       // 00000000C154: 7E084104
	v_exp_f32_e32 v5, v5                                       // 00000000C158: 7E0A4105
	v_exp_f32_e32 v6, v6                                       // 00000000C15C: 7E0C4106
	v_exp_f32_e32 v7, v7                                       // 00000000C160: 7E0E4107
	v_add_f32_e64 v4, v4, 1.0                                  // 00000000C164: D1010004 0001E504
	v_add_f32_e64 v5, v5, 1.0                                  // 00000000C16C: D1010005 0001E505
	v_add_f32_e64 v6, v6, 1.0                                  // 00000000C174: D1010006 0001E506
	v_add_f32_e64 v7, v7, 1.0                                  // 00000000C17C: D1010007 0001E507
	v_rcp_f32_e32 v4, v4                                       // 00000000C184: 7E084504
	v_rcp_f32_e32 v5, v5                                       // 00000000C188: 7E0A4505
	v_rcp_f32_e32 v6, v6                                       // 00000000C18C: 7E0C4506
	v_rcp_f32_e32 v7, v7                                       // 00000000C190: 7E0E4507
	v_mul_f32_e32 v84, v84, v4                                 // 00000000C194: 0AA80954
	v_mul_f32_e32 v85, v85, v5                                 // 00000000C198: 0AAA0B55
	v_mul_f32_e32 v86, v86, v6                                 // 00000000C19C: 0AAC0D56
	v_mul_f32_e32 v87, v87, v7                                 // 00000000C1A0: 0AAE0F57
	v_mul_f32_e32 v84, v84, v156                               // 00000000C1A4: 0AA93954
	v_mul_f32_e32 v85, v85, v157                               // 00000000C1A8: 0AAB3B55
	v_mul_f32_e32 v86, v86, v158                               // 00000000C1AC: 0AAD3D56
	v_mul_f32_e32 v87, v87, v159                               // 00000000C1B0: 0AAF3F57
	v_pk_mul_f32 v[4:5], v[88:89], v[88:89]                    // 00000000C1B4: D3B14004 1802B158
	v_pk_mul_f32 v[6:7], v[90:91], v[90:91]                    // 00000000C1BC: D3B14006 1802B55A
	v_pk_fma_f32 v[4:5], v[4:5], s[78:79], v[8:9]              // 00000000C1C4: D3B04004 1C209D04
	v_pk_fma_f32 v[6:7], v[6:7], s[78:79], v[8:9]              // 00000000C1CC: D3B04006 1C209D06
	v_pk_mul_f32 v[4:5], v[4:5], v[88:89]                      // 00000000C1D4: D3B14004 1802B104
	v_pk_mul_f32 v[6:7], v[6:7], v[90:91]                      // 00000000C1DC: D3B14006 1802B506
	v_pk_mul_f32 v[4:5], v[4:5], s[60:61]                      // 00000000C1E4: D3B14004 18007904
	v_pk_mul_f32 v[6:7], v[6:7], s[60:61]                      // 00000000C1EC: D3B14006 18007906
	v_exp_f32_e32 v4, v4                                       // 00000000C1F4: 7E084104
	v_exp_f32_e32 v5, v5                                       // 00000000C1F8: 7E0A4105
	v_exp_f32_e32 v6, v6                                       // 00000000C1FC: 7E0C4106
	v_exp_f32_e32 v7, v7                                       // 00000000C200: 7E0E4107
	v_add_f32_e64 v4, v4, 1.0                                  // 00000000C204: D1010004 0001E504
	v_add_f32_e64 v5, v5, 1.0                                  // 00000000C20C: D1010005 0001E505
	v_add_f32_e64 v6, v6, 1.0                                  // 00000000C214: D1010006 0001E506
	v_add_f32_e64 v7, v7, 1.0                                  // 00000000C21C: D1010007 0001E507
	v_rcp_f32_e32 v4, v4                                       // 00000000C224: 7E084504
	v_rcp_f32_e32 v5, v5                                       // 00000000C228: 7E0A4505
	v_rcp_f32_e32 v6, v6                                       // 00000000C22C: 7E0C4506
	v_rcp_f32_e32 v7, v7                                       // 00000000C230: 7E0E4507
	v_mul_f32_e32 v88, v88, v4                                 // 00000000C234: 0AB00958
	v_mul_f32_e32 v89, v89, v5                                 // 00000000C238: 0AB20B59
	v_mul_f32_e32 v90, v90, v6                                 // 00000000C23C: 0AB40D5A
	v_mul_f32_e32 v91, v91, v7                                 // 00000000C240: 0AB60F5B
	v_mul_f32_e32 v88, v88, v160                               // 00000000C244: 0AB14158
	v_mul_f32_e32 v89, v89, v161                               // 00000000C248: 0AB34359
	v_mul_f32_e32 v90, v90, v162                               // 00000000C24C: 0AB5455A
	v_mul_f32_e32 v91, v91, v163                               // 00000000C250: 0AB7475B
	v_pk_mul_f32 v[4:5], v[92:93], v[92:93]                    // 00000000C254: D3B14004 1802B95C
	v_pk_mul_f32 v[6:7], v[94:95], v[94:95]                    // 00000000C25C: D3B14006 1802BD5E
	v_pk_fma_f32 v[4:5], v[4:5], s[78:79], v[8:9]              // 00000000C264: D3B04004 1C209D04
	v_pk_fma_f32 v[6:7], v[6:7], s[78:79], v[8:9]              // 00000000C26C: D3B04006 1C209D06
	v_pk_mul_f32 v[4:5], v[4:5], v[92:93]                      // 00000000C274: D3B14004 1802B904
	v_pk_mul_f32 v[6:7], v[6:7], v[94:95]                      // 00000000C27C: D3B14006 1802BD06
	v_pk_mul_f32 v[4:5], v[4:5], s[60:61]                      // 00000000C284: D3B14004 18007904
	v_pk_mul_f32 v[6:7], v[6:7], s[60:61]                      // 00000000C28C: D3B14006 18007906
	v_exp_f32_e32 v4, v4                                       // 00000000C294: 7E084104
	v_exp_f32_e32 v5, v5                                       // 00000000C298: 7E0A4105
	v_exp_f32_e32 v6, v6                                       // 00000000C29C: 7E0C4106
	v_exp_f32_e32 v7, v7                                       // 00000000C2A0: 7E0E4107
	v_add_f32_e64 v4, v4, 1.0                                  // 00000000C2A4: D1010004 0001E504
	v_add_f32_e64 v5, v5, 1.0                                  // 00000000C2AC: D1010005 0001E505
	v_add_f32_e64 v6, v6, 1.0                                  // 00000000C2B4: D1010006 0001E506
	v_add_f32_e64 v7, v7, 1.0                                  // 00000000C2BC: D1010007 0001E507
	v_rcp_f32_e32 v4, v4                                       // 00000000C2C4: 7E084504
	v_rcp_f32_e32 v5, v5                                       // 00000000C2C8: 7E0A4505
	v_rcp_f32_e32 v6, v6                                       // 00000000C2CC: 7E0C4506
	v_rcp_f32_e32 v7, v7                                       // 00000000C2D0: 7E0E4507
	v_mul_f32_e32 v92, v92, v4                                 // 00000000C2D4: 0AB8095C
	v_mul_f32_e32 v93, v93, v5                                 // 00000000C2D8: 0ABA0B5D
	v_mul_f32_e32 v94, v94, v6                                 // 00000000C2DC: 0ABC0D5E
	v_mul_f32_e32 v95, v95, v7                                 // 00000000C2E0: 0ABE0F5F
	v_mul_f32_e32 v92, v92, v164                               // 00000000C2E4: 0AB9495C
	v_mul_f32_e32 v93, v93, v165                               // 00000000C2E8: 0ABB4B5D
	v_mul_f32_e32 v94, v94, v166                               // 00000000C2EC: 0ABD4D5E
	v_mul_f32_e32 v95, v95, v167                               // 00000000C2F0: 0ABF4F5F
	v_pk_mul_f32 v[4:5], v[96:97], v[96:97]                    // 00000000C2F4: D3B14004 1802C160
	v_pk_mul_f32 v[6:7], v[98:99], v[98:99]                    // 00000000C2FC: D3B14006 1802C562
	v_pk_fma_f32 v[4:5], v[4:5], s[78:79], v[8:9]              // 00000000C304: D3B04004 1C209D04
	v_pk_fma_f32 v[6:7], v[6:7], s[78:79], v[8:9]              // 00000000C30C: D3B04006 1C209D06
	v_pk_mul_f32 v[4:5], v[4:5], v[96:97]                      // 00000000C314: D3B14004 1802C104
	v_pk_mul_f32 v[6:7], v[6:7], v[98:99]                      // 00000000C31C: D3B14006 1802C506
	v_pk_mul_f32 v[4:5], v[4:5], s[60:61]                      // 00000000C324: D3B14004 18007904
	v_pk_mul_f32 v[6:7], v[6:7], s[60:61]                      // 00000000C32C: D3B14006 18007906
	v_exp_f32_e32 v4, v4                                       // 00000000C334: 7E084104
	v_exp_f32_e32 v5, v5                                       // 00000000C338: 7E0A4105
	v_exp_f32_e32 v6, v6                                       // 00000000C33C: 7E0C4106
	v_exp_f32_e32 v7, v7                                       // 00000000C340: 7E0E4107
	v_add_f32_e64 v4, v4, 1.0                                  // 00000000C344: D1010004 0001E504
	v_add_f32_e64 v5, v5, 1.0                                  // 00000000C34C: D1010005 0001E505
	v_add_f32_e64 v6, v6, 1.0                                  // 00000000C354: D1010006 0001E506
	v_add_f32_e64 v7, v7, 1.0                                  // 00000000C35C: D1010007 0001E507
	v_rcp_f32_e32 v4, v4                                       // 00000000C364: 7E084504
	v_rcp_f32_e32 v5, v5                                       // 00000000C368: 7E0A4505
	v_rcp_f32_e32 v6, v6                                       // 00000000C36C: 7E0C4506
	v_rcp_f32_e32 v7, v7                                       // 00000000C370: 7E0E4507
	v_mul_f32_e32 v96, v96, v4                                 // 00000000C374: 0AC00960
	v_mul_f32_e32 v97, v97, v5                                 // 00000000C378: 0AC20B61
	v_mul_f32_e32 v98, v98, v6                                 // 00000000C37C: 0AC40D62
	v_mul_f32_e32 v99, v99, v7                                 // 00000000C380: 0AC60F63
	v_mul_f32_e32 v96, v96, v168                               // 00000000C384: 0AC15160
	v_mul_f32_e32 v97, v97, v169                               // 00000000C388: 0AC35361
	v_mul_f32_e32 v98, v98, v170                               // 00000000C38C: 0AC55562
	v_mul_f32_e32 v99, v99, v171                               // 00000000C390: 0AC75763
	v_pk_mul_f32 v[4:5], v[100:101], v[100:101]                // 00000000C394: D3B14004 1802C964
	v_pk_mul_f32 v[6:7], v[102:103], v[102:103]                // 00000000C39C: D3B14006 1802CD66
	v_pk_fma_f32 v[4:5], v[4:5], s[78:79], v[8:9]              // 00000000C3A4: D3B04004 1C209D04
	v_pk_fma_f32 v[6:7], v[6:7], s[78:79], v[8:9]              // 00000000C3AC: D3B04006 1C209D06
	v_pk_mul_f32 v[4:5], v[4:5], v[100:101]                    // 00000000C3B4: D3B14004 1802C904
	v_pk_mul_f32 v[6:7], v[6:7], v[102:103]                    // 00000000C3BC: D3B14006 1802CD06
	v_pk_mul_f32 v[4:5], v[4:5], s[60:61]                      // 00000000C3C4: D3B14004 18007904
	v_pk_mul_f32 v[6:7], v[6:7], s[60:61]                      // 00000000C3CC: D3B14006 18007906
	v_exp_f32_e32 v4, v4                                       // 00000000C3D4: 7E084104
	v_exp_f32_e32 v5, v5                                       // 00000000C3D8: 7E0A4105
	v_exp_f32_e32 v6, v6                                       // 00000000C3DC: 7E0C4106
	v_exp_f32_e32 v7, v7                                       // 00000000C3E0: 7E0E4107
	v_add_f32_e64 v4, v4, 1.0                                  // 00000000C3E4: D1010004 0001E504
	v_add_f32_e64 v5, v5, 1.0                                  // 00000000C3EC: D1010005 0001E505
	v_add_f32_e64 v6, v6, 1.0                                  // 00000000C3F4: D1010006 0001E506
	v_add_f32_e64 v7, v7, 1.0                                  // 00000000C3FC: D1010007 0001E507
	v_rcp_f32_e32 v4, v4                                       // 00000000C404: 7E084504
	v_rcp_f32_e32 v5, v5                                       // 00000000C408: 7E0A4505
	v_rcp_f32_e32 v6, v6                                       // 00000000C40C: 7E0C4506
	v_rcp_f32_e32 v7, v7                                       // 00000000C410: 7E0E4507
	v_mul_f32_e32 v100, v100, v4                               // 00000000C414: 0AC80964
	v_mul_f32_e32 v101, v101, v5                               // 00000000C418: 0ACA0B65
	v_mul_f32_e32 v102, v102, v6                               // 00000000C41C: 0ACC0D66
	v_mul_f32_e32 v103, v103, v7                               // 00000000C420: 0ACE0F67
	v_mul_f32_e32 v100, v100, v172                             // 00000000C424: 0AC95964
	v_mul_f32_e32 v101, v101, v173                             // 00000000C428: 0ACB5B65
	v_mul_f32_e32 v102, v102, v174                             // 00000000C42C: 0ACD5D66
	v_mul_f32_e32 v103, v103, v175                             // 00000000C430: 0ACF5F67
	v_pk_mul_f32 v[4:5], v[104:105], v[104:105]                // 00000000C434: D3B14004 1802D168
	v_pk_mul_f32 v[6:7], v[106:107], v[106:107]                // 00000000C43C: D3B14006 1802D56A
	v_pk_fma_f32 v[4:5], v[4:5], s[78:79], v[8:9]              // 00000000C444: D3B04004 1C209D04
	v_pk_fma_f32 v[6:7], v[6:7], s[78:79], v[8:9]              // 00000000C44C: D3B04006 1C209D06
	v_pk_mul_f32 v[4:5], v[4:5], v[104:105]                    // 00000000C454: D3B14004 1802D104
	v_pk_mul_f32 v[6:7], v[6:7], v[106:107]                    // 00000000C45C: D3B14006 1802D506
	v_pk_mul_f32 v[4:5], v[4:5], s[60:61]                      // 00000000C464: D3B14004 18007904
	v_pk_mul_f32 v[6:7], v[6:7], s[60:61]                      // 00000000C46C: D3B14006 18007906
	v_exp_f32_e32 v4, v4                                       // 00000000C474: 7E084104
	v_exp_f32_e32 v5, v5                                       // 00000000C478: 7E0A4105
	v_exp_f32_e32 v6, v6                                       // 00000000C47C: 7E0C4106
	v_exp_f32_e32 v7, v7                                       // 00000000C480: 7E0E4107
	v_add_f32_e64 v4, v4, 1.0                                  // 00000000C484: D1010004 0001E504
	v_add_f32_e64 v5, v5, 1.0                                  // 00000000C48C: D1010005 0001E505
	v_add_f32_e64 v6, v6, 1.0                                  // 00000000C494: D1010006 0001E506
	v_add_f32_e64 v7, v7, 1.0                                  // 00000000C49C: D1010007 0001E507
	v_rcp_f32_e32 v4, v4                                       // 00000000C4A4: 7E084504
	v_rcp_f32_e32 v5, v5                                       // 00000000C4A8: 7E0A4505
	v_rcp_f32_e32 v6, v6                                       // 00000000C4AC: 7E0C4506
	v_rcp_f32_e32 v7, v7                                       // 00000000C4B0: 7E0E4507
	v_mul_f32_e32 v104, v104, v4                               // 00000000C4B4: 0AD00968
	v_mul_f32_e32 v105, v105, v5                               // 00000000C4B8: 0AD20B69
	v_mul_f32_e32 v106, v106, v6                               // 00000000C4BC: 0AD40D6A
	v_mul_f32_e32 v107, v107, v7                               // 00000000C4C0: 0AD60F6B
	v_mul_f32_e32 v104, v104, v176                             // 00000000C4C4: 0AD16168
	v_mul_f32_e32 v105, v105, v177                             // 00000000C4C8: 0AD36369
	v_mul_f32_e32 v106, v106, v178                             // 00000000C4CC: 0AD5656A
	v_mul_f32_e32 v107, v107, v179                             // 00000000C4D0: 0AD7676B
	v_pk_mul_f32 v[4:5], v[108:109], v[108:109]                // 00000000C4D4: D3B14004 1802D96C
	v_pk_mul_f32 v[6:7], v[110:111], v[110:111]                // 00000000C4DC: D3B14006 1802DD6E
	v_pk_fma_f32 v[4:5], v[4:5], s[78:79], v[8:9]              // 00000000C4E4: D3B04004 1C209D04
	v_pk_fma_f32 v[6:7], v[6:7], s[78:79], v[8:9]              // 00000000C4EC: D3B04006 1C209D06
	v_pk_mul_f32 v[4:5], v[4:5], v[108:109]                    // 00000000C4F4: D3B14004 1802D904
	v_pk_mul_f32 v[6:7], v[6:7], v[110:111]                    // 00000000C4FC: D3B14006 1802DD06
	v_pk_mul_f32 v[4:5], v[4:5], s[60:61]                      // 00000000C504: D3B14004 18007904
	v_pk_mul_f32 v[6:7], v[6:7], s[60:61]                      // 00000000C50C: D3B14006 18007906
	v_exp_f32_e32 v4, v4                                       // 00000000C514: 7E084104
	v_exp_f32_e32 v5, v5                                       // 00000000C518: 7E0A4105
	v_exp_f32_e32 v6, v6                                       // 00000000C51C: 7E0C4106
	v_exp_f32_e32 v7, v7                                       // 00000000C520: 7E0E4107
	v_add_f32_e64 v4, v4, 1.0                                  // 00000000C524: D1010004 0001E504
	v_add_f32_e64 v5, v5, 1.0                                  // 00000000C52C: D1010005 0001E505
	v_add_f32_e64 v6, v6, 1.0                                  // 00000000C534: D1010006 0001E506
	v_add_f32_e64 v7, v7, 1.0                                  // 00000000C53C: D1010007 0001E507
	v_rcp_f32_e32 v4, v4                                       // 00000000C544: 7E084504
	v_rcp_f32_e32 v5, v5                                       // 00000000C548: 7E0A4505
	v_rcp_f32_e32 v6, v6                                       // 00000000C54C: 7E0C4506
	v_rcp_f32_e32 v7, v7                                       // 00000000C550: 7E0E4507
	v_mul_f32_e32 v108, v108, v4                               // 00000000C554: 0AD8096C
	v_mul_f32_e32 v109, v109, v5                               // 00000000C558: 0ADA0B6D
	v_mul_f32_e32 v110, v110, v6                               // 00000000C55C: 0ADC0D6E
	v_mul_f32_e32 v111, v111, v7                               // 00000000C560: 0ADE0F6F
	v_mul_f32_e32 v108, v108, v180                             // 00000000C564: 0AD9696C
	v_mul_f32_e32 v109, v109, v181                             // 00000000C568: 0ADB6B6D
	v_mul_f32_e32 v110, v110, v182                             // 00000000C56C: 0ADD6D6E
	v_mul_f32_e32 v111, v111, v183                             // 00000000C570: 0ADF6F6F
	v_pk_mul_f32 v[4:5], v[112:113], v[112:113]                // 00000000C574: D3B14004 1802E170
	v_pk_mul_f32 v[6:7], v[114:115], v[114:115]                // 00000000C57C: D3B14006 1802E572
	v_pk_fma_f32 v[4:5], v[4:5], s[78:79], v[8:9]              // 00000000C584: D3B04004 1C209D04
	v_pk_fma_f32 v[6:7], v[6:7], s[78:79], v[8:9]              // 00000000C58C: D3B04006 1C209D06
	v_pk_mul_f32 v[4:5], v[4:5], v[112:113]                    // 00000000C594: D3B14004 1802E104
	v_pk_mul_f32 v[6:7], v[6:7], v[114:115]                    // 00000000C59C: D3B14006 1802E506
	v_pk_mul_f32 v[4:5], v[4:5], s[60:61]                      // 00000000C5A4: D3B14004 18007904
	v_pk_mul_f32 v[6:7], v[6:7], s[60:61]                      // 00000000C5AC: D3B14006 18007906
	v_exp_f32_e32 v4, v4                                       // 00000000C5B4: 7E084104
	v_exp_f32_e32 v5, v5                                       // 00000000C5B8: 7E0A4105
	v_exp_f32_e32 v6, v6                                       // 00000000C5BC: 7E0C4106
	v_exp_f32_e32 v7, v7                                       // 00000000C5C0: 7E0E4107
	v_add_f32_e64 v4, v4, 1.0                                  // 00000000C5C4: D1010004 0001E504
	v_add_f32_e64 v5, v5, 1.0                                  // 00000000C5CC: D1010005 0001E505
	v_add_f32_e64 v6, v6, 1.0                                  // 00000000C5D4: D1010006 0001E506
	v_add_f32_e64 v7, v7, 1.0                                  // 00000000C5DC: D1010007 0001E507
	v_rcp_f32_e32 v4, v4                                       // 00000000C5E4: 7E084504
	v_rcp_f32_e32 v5, v5                                       // 00000000C5E8: 7E0A4505
	v_rcp_f32_e32 v6, v6                                       // 00000000C5EC: 7E0C4506
	v_rcp_f32_e32 v7, v7                                       // 00000000C5F0: 7E0E4507
	v_mul_f32_e32 v112, v112, v4                               // 00000000C5F4: 0AE00970
	v_mul_f32_e32 v113, v113, v5                               // 00000000C5F8: 0AE20B71
	v_mul_f32_e32 v114, v114, v6                               // 00000000C5FC: 0AE40D72
	v_mul_f32_e32 v115, v115, v7                               // 00000000C600: 0AE60F73
	v_mul_f32_e32 v112, v112, v184                             // 00000000C604: 0AE17170
	v_mul_f32_e32 v113, v113, v185                             // 00000000C608: 0AE37371
	v_mul_f32_e32 v114, v114, v186                             // 00000000C60C: 0AE57572
	v_mul_f32_e32 v115, v115, v187                             // 00000000C610: 0AE77773
	v_pk_mul_f32 v[4:5], v[116:117], v[116:117]                // 00000000C614: D3B14004 1802E974
	v_pk_mul_f32 v[6:7], v[118:119], v[118:119]                // 00000000C61C: D3B14006 1802ED76
	v_pk_fma_f32 v[4:5], v[4:5], s[78:79], v[8:9]              // 00000000C624: D3B04004 1C209D04
	v_pk_fma_f32 v[6:7], v[6:7], s[78:79], v[8:9]              // 00000000C62C: D3B04006 1C209D06
	v_pk_mul_f32 v[4:5], v[4:5], v[116:117]                    // 00000000C634: D3B14004 1802E904
	v_pk_mul_f32 v[6:7], v[6:7], v[118:119]                    // 00000000C63C: D3B14006 1802ED06
	v_pk_mul_f32 v[4:5], v[4:5], s[60:61]                      // 00000000C644: D3B14004 18007904
	v_pk_mul_f32 v[6:7], v[6:7], s[60:61]                      // 00000000C64C: D3B14006 18007906
	v_exp_f32_e32 v4, v4                                       // 00000000C654: 7E084104
	v_exp_f32_e32 v5, v5                                       // 00000000C658: 7E0A4105
	v_exp_f32_e32 v6, v6                                       // 00000000C65C: 7E0C4106
	v_exp_f32_e32 v7, v7                                       // 00000000C660: 7E0E4107
	v_add_f32_e64 v4, v4, 1.0                                  // 00000000C664: D1010004 0001E504
	v_add_f32_e64 v5, v5, 1.0                                  // 00000000C66C: D1010005 0001E505
	v_add_f32_e64 v6, v6, 1.0                                  // 00000000C674: D1010006 0001E506
	v_add_f32_e64 v7, v7, 1.0                                  // 00000000C67C: D1010007 0001E507
	v_rcp_f32_e32 v4, v4                                       // 00000000C684: 7E084504
	v_rcp_f32_e32 v5, v5                                       // 00000000C688: 7E0A4505
	v_rcp_f32_e32 v6, v6                                       // 00000000C68C: 7E0C4506
	v_rcp_f32_e32 v7, v7                                       // 00000000C690: 7E0E4507
	v_mul_f32_e32 v116, v116, v4                               // 00000000C694: 0AE80974
	v_mul_f32_e32 v117, v117, v5                               // 00000000C698: 0AEA0B75
	v_mul_f32_e32 v118, v118, v6                               // 00000000C69C: 0AEC0D76
	v_mul_f32_e32 v119, v119, v7                               // 00000000C6A0: 0AEE0F77
	v_mul_f32_e32 v116, v116, v188                             // 00000000C6A4: 0AE97974
	v_mul_f32_e32 v117, v117, v189                             // 00000000C6A8: 0AEB7B75
	v_mul_f32_e32 v118, v118, v190                             // 00000000C6AC: 0AED7D76
	v_mul_f32_e32 v119, v119, v191                             // 00000000C6B0: 0AEF7F77
	v_pk_mul_f32 v[4:5], v[120:121], v[120:121]                // 00000000C6B4: D3B14004 1802F178
	v_pk_mul_f32 v[6:7], v[122:123], v[122:123]                // 00000000C6BC: D3B14006 1802F57A
	v_pk_fma_f32 v[4:5], v[4:5], s[78:79], v[8:9]              // 00000000C6C4: D3B04004 1C209D04
	v_pk_fma_f32 v[6:7], v[6:7], s[78:79], v[8:9]              // 00000000C6CC: D3B04006 1C209D06
	v_pk_mul_f32 v[4:5], v[4:5], v[120:121]                    // 00000000C6D4: D3B14004 1802F104
	v_pk_mul_f32 v[6:7], v[6:7], v[122:123]                    // 00000000C6DC: D3B14006 1802F506
	v_pk_mul_f32 v[4:5], v[4:5], s[60:61]                      // 00000000C6E4: D3B14004 18007904
	v_pk_mul_f32 v[6:7], v[6:7], s[60:61]                      // 00000000C6EC: D3B14006 18007906
	v_exp_f32_e32 v4, v4                                       // 00000000C6F4: 7E084104
	v_exp_f32_e32 v5, v5                                       // 00000000C6F8: 7E0A4105
	v_exp_f32_e32 v6, v6                                       // 00000000C6FC: 7E0C4106
	v_exp_f32_e32 v7, v7                                       // 00000000C700: 7E0E4107
	v_add_f32_e64 v4, v4, 1.0                                  // 00000000C704: D1010004 0001E504
	v_add_f32_e64 v5, v5, 1.0                                  // 00000000C70C: D1010005 0001E505
	v_add_f32_e64 v6, v6, 1.0                                  // 00000000C714: D1010006 0001E506
	v_add_f32_e64 v7, v7, 1.0                                  // 00000000C71C: D1010007 0001E507
	v_rcp_f32_e32 v4, v4                                       // 00000000C724: 7E084504
	v_rcp_f32_e32 v5, v5                                       // 00000000C728: 7E0A4505
	v_rcp_f32_e32 v6, v6                                       // 00000000C72C: 7E0C4506
	v_rcp_f32_e32 v7, v7                                       // 00000000C730: 7E0E4507
	v_mul_f32_e32 v120, v120, v4                               // 00000000C734: 0AF00978
	v_mul_f32_e32 v121, v121, v5                               // 00000000C738: 0AF20B79
	v_mul_f32_e32 v122, v122, v6                               // 00000000C73C: 0AF40D7A
	v_mul_f32_e32 v123, v123, v7                               // 00000000C740: 0AF60F7B
	v_mul_f32_e32 v120, v120, v192                             // 00000000C744: 0AF18178
	v_mul_f32_e32 v121, v121, v193                             // 00000000C748: 0AF38379
	v_mul_f32_e32 v122, v122, v194                             // 00000000C74C: 0AF5857A
	v_mul_f32_e32 v123, v123, v195                             // 00000000C750: 0AF7877B
	v_pk_mul_f32 v[4:5], v[124:125], v[124:125]                // 00000000C754: D3B14004 1802F97C
	v_pk_mul_f32 v[6:7], v[126:127], v[126:127]                // 00000000C75C: D3B14006 1802FD7E
	v_pk_fma_f32 v[4:5], v[4:5], s[78:79], v[8:9]              // 00000000C764: D3B04004 1C209D04
	v_pk_fma_f32 v[6:7], v[6:7], s[78:79], v[8:9]              // 00000000C76C: D3B04006 1C209D06
	v_pk_mul_f32 v[4:5], v[4:5], v[124:125]                    // 00000000C774: D3B14004 1802F904
	v_pk_mul_f32 v[6:7], v[6:7], v[126:127]                    // 00000000C77C: D3B14006 1802FD06
	v_pk_mul_f32 v[4:5], v[4:5], s[60:61]                      // 00000000C784: D3B14004 18007904
	v_pk_mul_f32 v[6:7], v[6:7], s[60:61]                      // 00000000C78C: D3B14006 18007906
	v_exp_f32_e32 v4, v4                                       // 00000000C794: 7E084104
	v_exp_f32_e32 v5, v5                                       // 00000000C798: 7E0A4105
	v_exp_f32_e32 v6, v6                                       // 00000000C79C: 7E0C4106
	v_exp_f32_e32 v7, v7                                       // 00000000C7A0: 7E0E4107
	v_add_f32_e64 v4, v4, 1.0                                  // 00000000C7A4: D1010004 0001E504
	v_add_f32_e64 v5, v5, 1.0                                  // 00000000C7AC: D1010005 0001E505
	v_add_f32_e64 v6, v6, 1.0                                  // 00000000C7B4: D1010006 0001E506
	v_add_f32_e64 v7, v7, 1.0                                  // 00000000C7BC: D1010007 0001E507
	v_rcp_f32_e32 v4, v4                                       // 00000000C7C4: 7E084504
	v_rcp_f32_e32 v5, v5                                       // 00000000C7C8: 7E0A4505
	v_rcp_f32_e32 v6, v6                                       // 00000000C7CC: 7E0C4506
	v_rcp_f32_e32 v7, v7                                       // 00000000C7D0: 7E0E4507
	v_mul_f32_e32 v124, v124, v4                               // 00000000C7D4: 0AF8097C
	v_mul_f32_e32 v125, v125, v5                               // 00000000C7D8: 0AFA0B7D
	v_mul_f32_e32 v126, v126, v6                               // 00000000C7DC: 0AFC0D7E
	v_mul_f32_e32 v127, v127, v7                               // 00000000C7E0: 0AFE0F7F
	v_mul_f32_e32 v124, v124, v196                             // 00000000C7E4: 0AF9897C
	v_mul_f32_e32 v125, v125, v197                             // 00000000C7E8: 0AFB8B7D
	v_mul_f32_e32 v126, v126, v198                             // 00000000C7EC: 0AFD8D7E
	v_mul_f32_e32 v127, v127, v199                             // 00000000C7F0: 0AFF8F7F
	v_pk_mul_f32 v[4:5], v[128:129], v[128:129]                // 00000000C7F4: D3B14004 18030180
	v_pk_mul_f32 v[6:7], v[130:131], v[130:131]                // 00000000C7FC: D3B14006 18030582
	v_pk_fma_f32 v[4:5], v[4:5], s[78:79], v[8:9]              // 00000000C804: D3B04004 1C209D04
	v_pk_fma_f32 v[6:7], v[6:7], s[78:79], v[8:9]              // 00000000C80C: D3B04006 1C209D06
	v_pk_mul_f32 v[4:5], v[4:5], v[128:129]                    // 00000000C814: D3B14004 18030104
	v_pk_mul_f32 v[6:7], v[6:7], v[130:131]                    // 00000000C81C: D3B14006 18030506
	v_pk_mul_f32 v[4:5], v[4:5], s[60:61]                      // 00000000C824: D3B14004 18007904
	v_pk_mul_f32 v[6:7], v[6:7], s[60:61]                      // 00000000C82C: D3B14006 18007906
	v_exp_f32_e32 v4, v4                                       // 00000000C834: 7E084104
	v_exp_f32_e32 v5, v5                                       // 00000000C838: 7E0A4105
	v_exp_f32_e32 v6, v6                                       // 00000000C83C: 7E0C4106
	v_exp_f32_e32 v7, v7                                       // 00000000C840: 7E0E4107
	v_add_f32_e64 v4, v4, 1.0                                  // 00000000C844: D1010004 0001E504
	v_add_f32_e64 v5, v5, 1.0                                  // 00000000C84C: D1010005 0001E505
	v_add_f32_e64 v6, v6, 1.0                                  // 00000000C854: D1010006 0001E506
	v_add_f32_e64 v7, v7, 1.0                                  // 00000000C85C: D1010007 0001E507
	v_rcp_f32_e32 v4, v4                                       // 00000000C864: 7E084504
	v_rcp_f32_e32 v5, v5                                       // 00000000C868: 7E0A4505
	v_rcp_f32_e32 v6, v6                                       // 00000000C86C: 7E0C4506
	v_rcp_f32_e32 v7, v7                                       // 00000000C870: 7E0E4507
	v_mul_f32_e32 v128, v128, v4                               // 00000000C874: 0B000980
	v_mul_f32_e32 v129, v129, v5                               // 00000000C878: 0B020B81
	v_mul_f32_e32 v130, v130, v6                               // 00000000C87C: 0B040D82
	v_mul_f32_e32 v131, v131, v7                               // 00000000C880: 0B060F83
	v_mul_f32_e32 v128, v128, v200                             // 00000000C884: 0B019180
	v_mul_f32_e32 v129, v129, v201                             // 00000000C888: 0B039381
	v_mul_f32_e32 v130, v130, v202                             // 00000000C88C: 0B059582
	v_mul_f32_e32 v131, v131, v203                             // 00000000C890: 0B079783
	v_pk_mul_f32 v[4:5], v[132:133], v[132:133]                // 00000000C894: D3B14004 18030984
	v_pk_mul_f32 v[6:7], v[134:135], v[134:135]                // 00000000C89C: D3B14006 18030D86
	v_pk_fma_f32 v[4:5], v[4:5], s[78:79], v[8:9]              // 00000000C8A4: D3B04004 1C209D04
	v_pk_fma_f32 v[6:7], v[6:7], s[78:79], v[8:9]              // 00000000C8AC: D3B04006 1C209D06
	v_pk_mul_f32 v[4:5], v[4:5], v[132:133]                    // 00000000C8B4: D3B14004 18030904
	v_pk_mul_f32 v[6:7], v[6:7], v[134:135]                    // 00000000C8BC: D3B14006 18030D06
	v_pk_mul_f32 v[4:5], v[4:5], s[60:61]                      // 00000000C8C4: D3B14004 18007904
	v_pk_mul_f32 v[6:7], v[6:7], s[60:61]                      // 00000000C8CC: D3B14006 18007906
	v_exp_f32_e32 v4, v4                                       // 00000000C8D4: 7E084104
	v_exp_f32_e32 v5, v5                                       // 00000000C8D8: 7E0A4105
	v_exp_f32_e32 v6, v6                                       // 00000000C8DC: 7E0C4106
	v_exp_f32_e32 v7, v7                                       // 00000000C8E0: 7E0E4107
	v_add_f32_e64 v4, v4, 1.0                                  // 00000000C8E4: D1010004 0001E504
	v_add_f32_e64 v5, v5, 1.0                                  // 00000000C8EC: D1010005 0001E505
	v_add_f32_e64 v6, v6, 1.0                                  // 00000000C8F4: D1010006 0001E506
	v_add_f32_e64 v7, v7, 1.0                                  // 00000000C8FC: D1010007 0001E507
	v_rcp_f32_e32 v4, v4                                       // 00000000C904: 7E084504
	v_rcp_f32_e32 v5, v5                                       // 00000000C908: 7E0A4505
	v_rcp_f32_e32 v6, v6                                       // 00000000C90C: 7E0C4506
	v_rcp_f32_e32 v7, v7                                       // 00000000C910: 7E0E4507
	v_mul_f32_e32 v132, v132, v4                               // 00000000C914: 0B080984
	v_mul_f32_e32 v133, v133, v5                               // 00000000C918: 0B0A0B85
	v_mul_f32_e32 v134, v134, v6                               // 00000000C91C: 0B0C0D86
	v_mul_f32_e32 v135, v135, v7                               // 00000000C920: 0B0E0F87
	v_mul_f32_e32 v132, v132, v204                             // 00000000C924: 0B099984
	v_mul_f32_e32 v133, v133, v205                             // 00000000C928: 0B0B9B85
	v_mul_f32_e32 v134, v134, v206                             // 00000000C92C: 0B0D9D86
	v_mul_f32_e32 v135, v135, v207                             // 00000000C930: 0B0F9F87
	v_pk_mul_f32 v[4:5], v[136:137], v[136:137]                // 00000000C934: D3B14004 18031188
	v_pk_mul_f32 v[6:7], v[138:139], v[138:139]                // 00000000C93C: D3B14006 1803158A
	v_pk_fma_f32 v[4:5], v[4:5], s[78:79], v[8:9]              // 00000000C944: D3B04004 1C209D04
	v_pk_fma_f32 v[6:7], v[6:7], s[78:79], v[8:9]              // 00000000C94C: D3B04006 1C209D06
	v_pk_mul_f32 v[4:5], v[4:5], v[136:137]                    // 00000000C954: D3B14004 18031104
	v_pk_mul_f32 v[6:7], v[6:7], v[138:139]                    // 00000000C95C: D3B14006 18031506
	v_pk_mul_f32 v[4:5], v[4:5], s[60:61]                      // 00000000C964: D3B14004 18007904
	v_pk_mul_f32 v[6:7], v[6:7], s[60:61]                      // 00000000C96C: D3B14006 18007906
	v_exp_f32_e32 v4, v4                                       // 00000000C974: 7E084104
	v_exp_f32_e32 v5, v5                                       // 00000000C978: 7E0A4105
	v_exp_f32_e32 v6, v6                                       // 00000000C97C: 7E0C4106
	v_exp_f32_e32 v7, v7                                       // 00000000C980: 7E0E4107
	v_add_f32_e64 v4, v4, 1.0                                  // 00000000C984: D1010004 0001E504
	v_add_f32_e64 v5, v5, 1.0                                  // 00000000C98C: D1010005 0001E505
	v_add_f32_e64 v6, v6, 1.0                                  // 00000000C994: D1010006 0001E506
	v_add_f32_e64 v7, v7, 1.0                                  // 00000000C99C: D1010007 0001E507
	v_rcp_f32_e32 v4, v4                                       // 00000000C9A4: 7E084504
	v_rcp_f32_e32 v5, v5                                       // 00000000C9A8: 7E0A4505
	v_rcp_f32_e32 v6, v6                                       // 00000000C9AC: 7E0C4506
	v_rcp_f32_e32 v7, v7                                       // 00000000C9B0: 7E0E4507
	v_mul_f32_e32 v136, v136, v4                               // 00000000C9B4: 0B100988
	v_mul_f32_e32 v137, v137, v5                               // 00000000C9B8: 0B120B89
	v_mul_f32_e32 v138, v138, v6                               // 00000000C9BC: 0B140D8A
	v_mul_f32_e32 v139, v139, v7                               // 00000000C9C0: 0B160F8B
	v_mul_f32_e32 v136, v136, v208                             // 00000000C9C4: 0B11A188
	v_mul_f32_e32 v137, v137, v209                             // 00000000C9C8: 0B13A389
	v_mul_f32_e32 v138, v138, v210                             // 00000000C9CC: 0B15A58A
	v_mul_f32_e32 v139, v139, v211                             // 00000000C9D0: 0B17A78B
	v_pk_mul_f32 v[4:5], v[140:141], v[140:141]                // 00000000C9D4: D3B14004 1803198C
	v_pk_mul_f32 v[6:7], v[142:143], v[142:143]                // 00000000C9DC: D3B14006 18031D8E
	v_pk_fma_f32 v[4:5], v[4:5], s[78:79], v[8:9]              // 00000000C9E4: D3B04004 1C209D04
	v_pk_fma_f32 v[6:7], v[6:7], s[78:79], v[8:9]              // 00000000C9EC: D3B04006 1C209D06
	v_pk_mul_f32 v[4:5], v[4:5], v[140:141]                    // 00000000C9F4: D3B14004 18031904
	v_pk_mul_f32 v[6:7], v[6:7], v[142:143]                    // 00000000C9FC: D3B14006 18031D06
	v_pk_mul_f32 v[4:5], v[4:5], s[60:61]                      // 00000000CA04: D3B14004 18007904
	v_pk_mul_f32 v[6:7], v[6:7], s[60:61]                      // 00000000CA0C: D3B14006 18007906
	v_exp_f32_e32 v4, v4                                       // 00000000CA14: 7E084104
	v_exp_f32_e32 v5, v5                                       // 00000000CA18: 7E0A4105
	v_exp_f32_e32 v6, v6                                       // 00000000CA1C: 7E0C4106
	v_exp_f32_e32 v7, v7                                       // 00000000CA20: 7E0E4107
	v_add_f32_e64 v4, v4, 1.0                                  // 00000000CA24: D1010004 0001E504
	v_add_f32_e64 v5, v5, 1.0                                  // 00000000CA2C: D1010005 0001E505
	v_add_f32_e64 v6, v6, 1.0                                  // 00000000CA34: D1010006 0001E506
	v_add_f32_e64 v7, v7, 1.0                                  // 00000000CA3C: D1010007 0001E507
	v_rcp_f32_e32 v4, v4                                       // 00000000CA44: 7E084504
	v_rcp_f32_e32 v5, v5                                       // 00000000CA48: 7E0A4505
	v_rcp_f32_e32 v6, v6                                       // 00000000CA4C: 7E0C4506
	v_rcp_f32_e32 v7, v7                                       // 00000000CA50: 7E0E4507
	v_mul_f32_e32 v140, v140, v4                               // 00000000CA54: 0B18098C
	v_mul_f32_e32 v141, v141, v5                               // 00000000CA58: 0B1A0B8D
	v_mul_f32_e32 v142, v142, v6                               // 00000000CA5C: 0B1C0D8E
	v_mul_f32_e32 v143, v143, v7                               // 00000000CA60: 0B1E0F8F
	v_mul_f32_e32 v140, v140, v212                             // 00000000CA64: 0B19A98C
	v_mul_f32_e32 v141, v141, v213                             // 00000000CA68: 0B1BAB8D
	v_mul_f32_e32 v142, v142, v214                             // 00000000CA6C: 0B1DAD8E
	v_mul_f32_e32 v143, v143, v215                             // 00000000CA70: 0B1FAF8F
	v_pk_mul_f32 v[4:5], v[144:145], v[144:145]                // 00000000CA74: D3B14004 18032190
	v_pk_mul_f32 v[6:7], v[146:147], v[146:147]                // 00000000CA7C: D3B14006 18032592
	v_pk_fma_f32 v[4:5], v[4:5], s[78:79], v[8:9]              // 00000000CA84: D3B04004 1C209D04
	v_pk_fma_f32 v[6:7], v[6:7], s[78:79], v[8:9]              // 00000000CA8C: D3B04006 1C209D06
	v_pk_mul_f32 v[4:5], v[4:5], v[144:145]                    // 00000000CA94: D3B14004 18032104
	v_pk_mul_f32 v[6:7], v[6:7], v[146:147]                    // 00000000CA9C: D3B14006 18032506
	v_pk_mul_f32 v[4:5], v[4:5], s[60:61]                      // 00000000CAA4: D3B14004 18007904
	v_pk_mul_f32 v[6:7], v[6:7], s[60:61]                      // 00000000CAAC: D3B14006 18007906
	v_exp_f32_e32 v4, v4                                       // 00000000CAB4: 7E084104
	v_exp_f32_e32 v5, v5                                       // 00000000CAB8: 7E0A4105
	v_exp_f32_e32 v6, v6                                       // 00000000CABC: 7E0C4106
	v_exp_f32_e32 v7, v7                                       // 00000000CAC0: 7E0E4107
	v_add_f32_e64 v4, v4, 1.0                                  // 00000000CAC4: D1010004 0001E504
	v_add_f32_e64 v5, v5, 1.0                                  // 00000000CACC: D1010005 0001E505
	v_add_f32_e64 v6, v6, 1.0                                  // 00000000CAD4: D1010006 0001E506
	v_add_f32_e64 v7, v7, 1.0                                  // 00000000CADC: D1010007 0001E507
	v_rcp_f32_e32 v4, v4                                       // 00000000CAE4: 7E084504
	v_rcp_f32_e32 v5, v5                                       // 00000000CAE8: 7E0A4505
	v_rcp_f32_e32 v6, v6                                       // 00000000CAEC: 7E0C4506
	v_rcp_f32_e32 v7, v7                                       // 00000000CAF0: 7E0E4507
	v_mul_f32_e32 v144, v144, v4                               // 00000000CAF4: 0B200990
	v_mul_f32_e32 v145, v145, v5                               // 00000000CAF8: 0B220B91
	v_mul_f32_e32 v146, v146, v6                               // 00000000CAFC: 0B240D92
	v_mul_f32_e32 v147, v147, v7                               // 00000000CB00: 0B260F93
	v_mul_f32_e32 v144, v144, v216                             // 00000000CB04: 0B21B190
	v_mul_f32_e32 v145, v145, v217                             // 00000000CB08: 0B23B391
	v_mul_f32_e32 v146, v146, v218                             // 00000000CB0C: 0B25B592
	v_mul_f32_e32 v147, v147, v219                             // 00000000CB10: 0B27B793
	v_pk_mul_f32 v[4:5], v[148:149], v[148:149]                // 00000000CB14: D3B14004 18032994
	v_pk_mul_f32 v[6:7], v[150:151], v[150:151]                // 00000000CB1C: D3B14006 18032D96
	v_pk_fma_f32 v[4:5], v[4:5], s[78:79], v[8:9]              // 00000000CB24: D3B04004 1C209D04
	v_pk_fma_f32 v[6:7], v[6:7], s[78:79], v[8:9]              // 00000000CB2C: D3B04006 1C209D06
	v_pk_mul_f32 v[4:5], v[4:5], v[148:149]                    // 00000000CB34: D3B14004 18032904
	v_pk_mul_f32 v[6:7], v[6:7], v[150:151]                    // 00000000CB3C: D3B14006 18032D06
	v_pk_mul_f32 v[4:5], v[4:5], s[60:61]                      // 00000000CB44: D3B14004 18007904
	v_pk_mul_f32 v[6:7], v[6:7], s[60:61]                      // 00000000CB4C: D3B14006 18007906
	v_exp_f32_e32 v4, v4                                       // 00000000CB54: 7E084104
	v_exp_f32_e32 v5, v5                                       // 00000000CB58: 7E0A4105
	v_exp_f32_e32 v6, v6                                       // 00000000CB5C: 7E0C4106
	v_exp_f32_e32 v7, v7                                       // 00000000CB60: 7E0E4107
	v_add_f32_e64 v4, v4, 1.0                                  // 00000000CB64: D1010004 0001E504
	v_add_f32_e64 v5, v5, 1.0                                  // 00000000CB6C: D1010005 0001E505
	v_add_f32_e64 v6, v6, 1.0                                  // 00000000CB74: D1010006 0001E506
	v_add_f32_e64 v7, v7, 1.0                                  // 00000000CB7C: D1010007 0001E507
	v_rcp_f32_e32 v4, v4                                       // 00000000CB84: 7E084504
	v_rcp_f32_e32 v5, v5                                       // 00000000CB88: 7E0A4505
	v_rcp_f32_e32 v6, v6                                       // 00000000CB8C: 7E0C4506
	v_rcp_f32_e32 v7, v7                                       // 00000000CB90: 7E0E4507
	v_mul_f32_e32 v148, v148, v4                               // 00000000CB94: 0B280994
	v_mul_f32_e32 v149, v149, v5                               // 00000000CB98: 0B2A0B95
	v_mul_f32_e32 v150, v150, v6                               // 00000000CB9C: 0B2C0D96
	v_mul_f32_e32 v151, v151, v7                               // 00000000CBA0: 0B2E0F97
	v_mul_f32_e32 v148, v148, v220                             // 00000000CBA4: 0B29B994
	v_mul_f32_e32 v149, v149, v221                             // 00000000CBA8: 0B2BBB95
	v_mul_f32_e32 v150, v150, v222                             // 00000000CBAC: 0B2DBD96
	v_mul_f32_e32 v151, v151, v223                             // 00000000CBB0: 0B2FBF97
	v_pk_mul_f32 v[4:5], v[152:153], v[152:153]                // 00000000CBB4: D3B14004 18033198
	v_pk_mul_f32 v[6:7], v[154:155], v[154:155]                // 00000000CBBC: D3B14006 1803359A
	v_pk_fma_f32 v[4:5], v[4:5], s[78:79], v[8:9]              // 00000000CBC4: D3B04004 1C209D04
	v_pk_fma_f32 v[6:7], v[6:7], s[78:79], v[8:9]              // 00000000CBCC: D3B04006 1C209D06
	v_pk_mul_f32 v[4:5], v[4:5], v[152:153]                    // 00000000CBD4: D3B14004 18033104
	v_pk_mul_f32 v[6:7], v[6:7], v[154:155]                    // 00000000CBDC: D3B14006 18033506
	v_pk_mul_f32 v[4:5], v[4:5], s[60:61]                      // 00000000CBE4: D3B14004 18007904
	v_pk_mul_f32 v[6:7], v[6:7], s[60:61]                      // 00000000CBEC: D3B14006 18007906
	v_exp_f32_e32 v4, v4                                       // 00000000CBF4: 7E084104
	v_exp_f32_e32 v5, v5                                       // 00000000CBF8: 7E0A4105
	v_exp_f32_e32 v6, v6                                       // 00000000CBFC: 7E0C4106
	v_exp_f32_e32 v7, v7                                       // 00000000CC00: 7E0E4107
	v_add_f32_e64 v4, v4, 1.0                                  // 00000000CC04: D1010004 0001E504
	v_add_f32_e64 v5, v5, 1.0                                  // 00000000CC0C: D1010005 0001E505
	v_add_f32_e64 v6, v6, 1.0                                  // 00000000CC14: D1010006 0001E506
	v_add_f32_e64 v7, v7, 1.0                                  // 00000000CC1C: D1010007 0001E507
	v_rcp_f32_e32 v4, v4                                       // 00000000CC24: 7E084504
	v_rcp_f32_e32 v5, v5                                       // 00000000CC28: 7E0A4505
	v_rcp_f32_e32 v6, v6                                       // 00000000CC2C: 7E0C4506
	v_rcp_f32_e32 v7, v7                                       // 00000000CC30: 7E0E4507
	v_mul_f32_e32 v152, v152, v4                               // 00000000CC34: 0B300998
	v_mul_f32_e32 v153, v153, v5                               // 00000000CC38: 0B320B99
	v_mul_f32_e32 v154, v154, v6                               // 00000000CC3C: 0B340D9A
	v_mul_f32_e32 v155, v155, v7                               // 00000000CC40: 0B360F9B
	v_mul_f32_e32 v152, v152, v224                             // 00000000CC44: 0B31C198
	v_mul_f32_e32 v153, v153, v225                             // 00000000CC48: 0B33C399
	v_mul_f32_e32 v154, v154, v226                             // 00000000CC4C: 0B35C59A
	v_mul_f32_e32 v155, v155, v227                             // 00000000CC50: 0B37C79B
	s_branch label_2AD9                                        // 00000000CC54: BF820240

000000000000cc58 <label_2899>:
	v_mul_f32_e64 v4, -v84, s6                                 // 00000000CC58: D1050004 20000D54
	v_mul_f32_e64 v5, -v85, s6                                 // 00000000CC60: D1050005 20000D55
	v_mul_f32_e64 v6, -v86, s6                                 // 00000000CC68: D1050006 20000D56
	v_mul_f32_e64 v7, -v87, s6                                 // 00000000CC70: D1050007 20000D57
	v_exp_f32_e32 v4, v4                                       // 00000000CC78: 7E084104
	v_exp_f32_e32 v5, v5                                       // 00000000CC7C: 7E0A4105
	v_exp_f32_e32 v6, v6                                       // 00000000CC80: 7E0C4106
	v_exp_f32_e32 v7, v7                                       // 00000000CC84: 7E0E4107
	v_add_f32_e64 v4, v4, 1.0                                  // 00000000CC88: D1010004 0001E504
	v_add_f32_e64 v5, v5, 1.0                                  // 00000000CC90: D1010005 0001E505
	v_add_f32_e64 v6, v6, 1.0                                  // 00000000CC98: D1010006 0001E506
	v_add_f32_e64 v7, v7, 1.0                                  // 00000000CCA0: D1010007 0001E507
	v_rcp_f32_e32 v4, v4                                       // 00000000CCA8: 7E084504
	v_rcp_f32_e32 v5, v5                                       // 00000000CCAC: 7E0A4505
	v_rcp_f32_e32 v6, v6                                       // 00000000CCB0: 7E0C4506
	v_rcp_f32_e32 v7, v7                                       // 00000000CCB4: 7E0E4507
	v_mul_f32_e32 v84, v84, v4                                 // 00000000CCB8: 0AA80954
	v_mul_f32_e32 v85, v85, v5                                 // 00000000CCBC: 0AAA0B55
	v_mul_f32_e32 v86, v86, v6                                 // 00000000CCC0: 0AAC0D56
	v_mul_f32_e32 v87, v87, v7                                 // 00000000CCC4: 0AAE0F57
	v_mul_f32_e32 v84, v84, v156                               // 00000000CCC8: 0AA93954
	v_mul_f32_e32 v85, v85, v157                               // 00000000CCCC: 0AAB3B55
	v_mul_f32_e32 v86, v86, v158                               // 00000000CCD0: 0AAD3D56
	v_mul_f32_e32 v87, v87, v159                               // 00000000CCD4: 0AAF3F57
	v_mul_f32_e64 v4, -v88, s6                                 // 00000000CCD8: D1050004 20000D58
	v_mul_f32_e64 v5, -v89, s6                                 // 00000000CCE0: D1050005 20000D59
	v_mul_f32_e64 v6, -v90, s6                                 // 00000000CCE8: D1050006 20000D5A
	v_mul_f32_e64 v7, -v91, s6                                 // 00000000CCF0: D1050007 20000D5B
	v_exp_f32_e32 v4, v4                                       // 00000000CCF8: 7E084104
	v_exp_f32_e32 v5, v5                                       // 00000000CCFC: 7E0A4105
	v_exp_f32_e32 v6, v6                                       // 00000000CD00: 7E0C4106
	v_exp_f32_e32 v7, v7                                       // 00000000CD04: 7E0E4107
	v_add_f32_e64 v4, v4, 1.0                                  // 00000000CD08: D1010004 0001E504
	v_add_f32_e64 v5, v5, 1.0                                  // 00000000CD10: D1010005 0001E505
	v_add_f32_e64 v6, v6, 1.0                                  // 00000000CD18: D1010006 0001E506
	v_add_f32_e64 v7, v7, 1.0                                  // 00000000CD20: D1010007 0001E507
	v_rcp_f32_e32 v4, v4                                       // 00000000CD28: 7E084504
	v_rcp_f32_e32 v5, v5                                       // 00000000CD2C: 7E0A4505
	v_rcp_f32_e32 v6, v6                                       // 00000000CD30: 7E0C4506
	v_rcp_f32_e32 v7, v7                                       // 00000000CD34: 7E0E4507
	v_mul_f32_e32 v88, v88, v4                                 // 00000000CD38: 0AB00958
	v_mul_f32_e32 v89, v89, v5                                 // 00000000CD3C: 0AB20B59
	v_mul_f32_e32 v90, v90, v6                                 // 00000000CD40: 0AB40D5A
	v_mul_f32_e32 v91, v91, v7                                 // 00000000CD44: 0AB60F5B
	v_mul_f32_e32 v88, v88, v160                               // 00000000CD48: 0AB14158
	v_mul_f32_e32 v89, v89, v161                               // 00000000CD4C: 0AB34359
	v_mul_f32_e32 v90, v90, v162                               // 00000000CD50: 0AB5455A
	v_mul_f32_e32 v91, v91, v163                               // 00000000CD54: 0AB7475B
	v_mul_f32_e64 v4, -v92, s6                                 // 00000000CD58: D1050004 20000D5C
	v_mul_f32_e64 v5, -v93, s6                                 // 00000000CD60: D1050005 20000D5D
	v_mul_f32_e64 v6, -v94, s6                                 // 00000000CD68: D1050006 20000D5E
	v_mul_f32_e64 v7, -v95, s6                                 // 00000000CD70: D1050007 20000D5F
	v_exp_f32_e32 v4, v4                                       // 00000000CD78: 7E084104
	v_exp_f32_e32 v5, v5                                       // 00000000CD7C: 7E0A4105
	v_exp_f32_e32 v6, v6                                       // 00000000CD80: 7E0C4106
	v_exp_f32_e32 v7, v7                                       // 00000000CD84: 7E0E4107
	v_add_f32_e64 v4, v4, 1.0                                  // 00000000CD88: D1010004 0001E504
	v_add_f32_e64 v5, v5, 1.0                                  // 00000000CD90: D1010005 0001E505
	v_add_f32_e64 v6, v6, 1.0                                  // 00000000CD98: D1010006 0001E506
	v_add_f32_e64 v7, v7, 1.0                                  // 00000000CDA0: D1010007 0001E507
	v_rcp_f32_e32 v4, v4                                       // 00000000CDA8: 7E084504
	v_rcp_f32_e32 v5, v5                                       // 00000000CDAC: 7E0A4505
	v_rcp_f32_e32 v6, v6                                       // 00000000CDB0: 7E0C4506
	v_rcp_f32_e32 v7, v7                                       // 00000000CDB4: 7E0E4507
	v_mul_f32_e32 v92, v92, v4                                 // 00000000CDB8: 0AB8095C
	v_mul_f32_e32 v93, v93, v5                                 // 00000000CDBC: 0ABA0B5D
	v_mul_f32_e32 v94, v94, v6                                 // 00000000CDC0: 0ABC0D5E
	v_mul_f32_e32 v95, v95, v7                                 // 00000000CDC4: 0ABE0F5F
	v_mul_f32_e32 v92, v92, v164                               // 00000000CDC8: 0AB9495C
	v_mul_f32_e32 v93, v93, v165                               // 00000000CDCC: 0ABB4B5D
	v_mul_f32_e32 v94, v94, v166                               // 00000000CDD0: 0ABD4D5E
	v_mul_f32_e32 v95, v95, v167                               // 00000000CDD4: 0ABF4F5F
	v_mul_f32_e64 v4, -v96, s6                                 // 00000000CDD8: D1050004 20000D60
	v_mul_f32_e64 v5, -v97, s6                                 // 00000000CDE0: D1050005 20000D61
	v_mul_f32_e64 v6, -v98, s6                                 // 00000000CDE8: D1050006 20000D62
	v_mul_f32_e64 v7, -v99, s6                                 // 00000000CDF0: D1050007 20000D63
	v_exp_f32_e32 v4, v4                                       // 00000000CDF8: 7E084104
	v_exp_f32_e32 v5, v5                                       // 00000000CDFC: 7E0A4105
	v_exp_f32_e32 v6, v6                                       // 00000000CE00: 7E0C4106
	v_exp_f32_e32 v7, v7                                       // 00000000CE04: 7E0E4107
	v_add_f32_e64 v4, v4, 1.0                                  // 00000000CE08: D1010004 0001E504
	v_add_f32_e64 v5, v5, 1.0                                  // 00000000CE10: D1010005 0001E505
	v_add_f32_e64 v6, v6, 1.0                                  // 00000000CE18: D1010006 0001E506
	v_add_f32_e64 v7, v7, 1.0                                  // 00000000CE20: D1010007 0001E507
	v_rcp_f32_e32 v4, v4                                       // 00000000CE28: 7E084504
	v_rcp_f32_e32 v5, v5                                       // 00000000CE2C: 7E0A4505
	v_rcp_f32_e32 v6, v6                                       // 00000000CE30: 7E0C4506
	v_rcp_f32_e32 v7, v7                                       // 00000000CE34: 7E0E4507
	v_mul_f32_e32 v96, v96, v4                                 // 00000000CE38: 0AC00960
	v_mul_f32_e32 v97, v97, v5                                 // 00000000CE3C: 0AC20B61
	v_mul_f32_e32 v98, v98, v6                                 // 00000000CE40: 0AC40D62
	v_mul_f32_e32 v99, v99, v7                                 // 00000000CE44: 0AC60F63
	v_mul_f32_e32 v96, v96, v168                               // 00000000CE48: 0AC15160
	v_mul_f32_e32 v97, v97, v169                               // 00000000CE4C: 0AC35361
	v_mul_f32_e32 v98, v98, v170                               // 00000000CE50: 0AC55562
	v_mul_f32_e32 v99, v99, v171                               // 00000000CE54: 0AC75763
	v_mul_f32_e64 v4, -v100, s6                                // 00000000CE58: D1050004 20000D64
	v_mul_f32_e64 v5, -v101, s6                                // 00000000CE60: D1050005 20000D65
	v_mul_f32_e64 v6, -v102, s6                                // 00000000CE68: D1050006 20000D66
	v_mul_f32_e64 v7, -v103, s6                                // 00000000CE70: D1050007 20000D67
	v_exp_f32_e32 v4, v4                                       // 00000000CE78: 7E084104
	v_exp_f32_e32 v5, v5                                       // 00000000CE7C: 7E0A4105
	v_exp_f32_e32 v6, v6                                       // 00000000CE80: 7E0C4106
	v_exp_f32_e32 v7, v7                                       // 00000000CE84: 7E0E4107
	v_add_f32_e64 v4, v4, 1.0                                  // 00000000CE88: D1010004 0001E504
	v_add_f32_e64 v5, v5, 1.0                                  // 00000000CE90: D1010005 0001E505
	v_add_f32_e64 v6, v6, 1.0                                  // 00000000CE98: D1010006 0001E506
	v_add_f32_e64 v7, v7, 1.0                                  // 00000000CEA0: D1010007 0001E507
	v_rcp_f32_e32 v4, v4                                       // 00000000CEA8: 7E084504
	v_rcp_f32_e32 v5, v5                                       // 00000000CEAC: 7E0A4505
	v_rcp_f32_e32 v6, v6                                       // 00000000CEB0: 7E0C4506
	v_rcp_f32_e32 v7, v7                                       // 00000000CEB4: 7E0E4507
	v_mul_f32_e32 v100, v100, v4                               // 00000000CEB8: 0AC80964
	v_mul_f32_e32 v101, v101, v5                               // 00000000CEBC: 0ACA0B65
	v_mul_f32_e32 v102, v102, v6                               // 00000000CEC0: 0ACC0D66
	v_mul_f32_e32 v103, v103, v7                               // 00000000CEC4: 0ACE0F67
	v_mul_f32_e32 v100, v100, v172                             // 00000000CEC8: 0AC95964
	v_mul_f32_e32 v101, v101, v173                             // 00000000CECC: 0ACB5B65
	v_mul_f32_e32 v102, v102, v174                             // 00000000CED0: 0ACD5D66
	v_mul_f32_e32 v103, v103, v175                             // 00000000CED4: 0ACF5F67
	v_mul_f32_e64 v4, -v104, s6                                // 00000000CED8: D1050004 20000D68
	v_mul_f32_e64 v5, -v105, s6                                // 00000000CEE0: D1050005 20000D69
	v_mul_f32_e64 v6, -v106, s6                                // 00000000CEE8: D1050006 20000D6A
	v_mul_f32_e64 v7, -v107, s6                                // 00000000CEF0: D1050007 20000D6B
	v_exp_f32_e32 v4, v4                                       // 00000000CEF8: 7E084104
	v_exp_f32_e32 v5, v5                                       // 00000000CEFC: 7E0A4105
	v_exp_f32_e32 v6, v6                                       // 00000000CF00: 7E0C4106
	v_exp_f32_e32 v7, v7                                       // 00000000CF04: 7E0E4107
	v_add_f32_e64 v4, v4, 1.0                                  // 00000000CF08: D1010004 0001E504
	v_add_f32_e64 v5, v5, 1.0                                  // 00000000CF10: D1010005 0001E505
	v_add_f32_e64 v6, v6, 1.0                                  // 00000000CF18: D1010006 0001E506
	v_add_f32_e64 v7, v7, 1.0                                  // 00000000CF20: D1010007 0001E507
	v_rcp_f32_e32 v4, v4                                       // 00000000CF28: 7E084504
	v_rcp_f32_e32 v5, v5                                       // 00000000CF2C: 7E0A4505
	v_rcp_f32_e32 v6, v6                                       // 00000000CF30: 7E0C4506
	v_rcp_f32_e32 v7, v7                                       // 00000000CF34: 7E0E4507
	v_mul_f32_e32 v104, v104, v4                               // 00000000CF38: 0AD00968
	v_mul_f32_e32 v105, v105, v5                               // 00000000CF3C: 0AD20B69
	v_mul_f32_e32 v106, v106, v6                               // 00000000CF40: 0AD40D6A
	v_mul_f32_e32 v107, v107, v7                               // 00000000CF44: 0AD60F6B
	v_mul_f32_e32 v104, v104, v176                             // 00000000CF48: 0AD16168
	v_mul_f32_e32 v105, v105, v177                             // 00000000CF4C: 0AD36369
	v_mul_f32_e32 v106, v106, v178                             // 00000000CF50: 0AD5656A
	v_mul_f32_e32 v107, v107, v179                             // 00000000CF54: 0AD7676B
	v_mul_f32_e64 v4, -v108, s6                                // 00000000CF58: D1050004 20000D6C
	v_mul_f32_e64 v5, -v109, s6                                // 00000000CF60: D1050005 20000D6D
	v_mul_f32_e64 v6, -v110, s6                                // 00000000CF68: D1050006 20000D6E
	v_mul_f32_e64 v7, -v111, s6                                // 00000000CF70: D1050007 20000D6F
	v_exp_f32_e32 v4, v4                                       // 00000000CF78: 7E084104
	v_exp_f32_e32 v5, v5                                       // 00000000CF7C: 7E0A4105
	v_exp_f32_e32 v6, v6                                       // 00000000CF80: 7E0C4106
	v_exp_f32_e32 v7, v7                                       // 00000000CF84: 7E0E4107
	v_add_f32_e64 v4, v4, 1.0                                  // 00000000CF88: D1010004 0001E504
	v_add_f32_e64 v5, v5, 1.0                                  // 00000000CF90: D1010005 0001E505
	v_add_f32_e64 v6, v6, 1.0                                  // 00000000CF98: D1010006 0001E506
	v_add_f32_e64 v7, v7, 1.0                                  // 00000000CFA0: D1010007 0001E507
	v_rcp_f32_e32 v4, v4                                       // 00000000CFA8: 7E084504
	v_rcp_f32_e32 v5, v5                                       // 00000000CFAC: 7E0A4505
	v_rcp_f32_e32 v6, v6                                       // 00000000CFB0: 7E0C4506
	v_rcp_f32_e32 v7, v7                                       // 00000000CFB4: 7E0E4507
	v_mul_f32_e32 v108, v108, v4                               // 00000000CFB8: 0AD8096C
	v_mul_f32_e32 v109, v109, v5                               // 00000000CFBC: 0ADA0B6D
	v_mul_f32_e32 v110, v110, v6                               // 00000000CFC0: 0ADC0D6E
	v_mul_f32_e32 v111, v111, v7                               // 00000000CFC4: 0ADE0F6F
	v_mul_f32_e32 v108, v108, v180                             // 00000000CFC8: 0AD9696C
	v_mul_f32_e32 v109, v109, v181                             // 00000000CFCC: 0ADB6B6D
	v_mul_f32_e32 v110, v110, v182                             // 00000000CFD0: 0ADD6D6E
	v_mul_f32_e32 v111, v111, v183                             // 00000000CFD4: 0ADF6F6F
	v_mul_f32_e64 v4, -v112, s6                                // 00000000CFD8: D1050004 20000D70
	v_mul_f32_e64 v5, -v113, s6                                // 00000000CFE0: D1050005 20000D71
	v_mul_f32_e64 v6, -v114, s6                                // 00000000CFE8: D1050006 20000D72
	v_mul_f32_e64 v7, -v115, s6                                // 00000000CFF0: D1050007 20000D73
	v_exp_f32_e32 v4, v4                                       // 00000000CFF8: 7E084104
	v_exp_f32_e32 v5, v5                                       // 00000000CFFC: 7E0A4105
	v_exp_f32_e32 v6, v6                                       // 00000000D000: 7E0C4106
	v_exp_f32_e32 v7, v7                                       // 00000000D004: 7E0E4107
	v_add_f32_e64 v4, v4, 1.0                                  // 00000000D008: D1010004 0001E504
	v_add_f32_e64 v5, v5, 1.0                                  // 00000000D010: D1010005 0001E505
	v_add_f32_e64 v6, v6, 1.0                                  // 00000000D018: D1010006 0001E506
	v_add_f32_e64 v7, v7, 1.0                                  // 00000000D020: D1010007 0001E507
	v_rcp_f32_e32 v4, v4                                       // 00000000D028: 7E084504
	v_rcp_f32_e32 v5, v5                                       // 00000000D02C: 7E0A4505
	v_rcp_f32_e32 v6, v6                                       // 00000000D030: 7E0C4506
	v_rcp_f32_e32 v7, v7                                       // 00000000D034: 7E0E4507
	v_mul_f32_e32 v112, v112, v4                               // 00000000D038: 0AE00970
	v_mul_f32_e32 v113, v113, v5                               // 00000000D03C: 0AE20B71
	v_mul_f32_e32 v114, v114, v6                               // 00000000D040: 0AE40D72
	v_mul_f32_e32 v115, v115, v7                               // 00000000D044: 0AE60F73
	v_mul_f32_e32 v112, v112, v184                             // 00000000D048: 0AE17170
	v_mul_f32_e32 v113, v113, v185                             // 00000000D04C: 0AE37371
	v_mul_f32_e32 v114, v114, v186                             // 00000000D050: 0AE57572
	v_mul_f32_e32 v115, v115, v187                             // 00000000D054: 0AE77773
	v_mul_f32_e64 v4, -v116, s6                                // 00000000D058: D1050004 20000D74
	v_mul_f32_e64 v5, -v117, s6                                // 00000000D060: D1050005 20000D75
	v_mul_f32_e64 v6, -v118, s6                                // 00000000D068: D1050006 20000D76
	v_mul_f32_e64 v7, -v119, s6                                // 00000000D070: D1050007 20000D77
	v_exp_f32_e32 v4, v4                                       // 00000000D078: 7E084104
	v_exp_f32_e32 v5, v5                                       // 00000000D07C: 7E0A4105
	v_exp_f32_e32 v6, v6                                       // 00000000D080: 7E0C4106
	v_exp_f32_e32 v7, v7                                       // 00000000D084: 7E0E4107
	v_add_f32_e64 v4, v4, 1.0                                  // 00000000D088: D1010004 0001E504
	v_add_f32_e64 v5, v5, 1.0                                  // 00000000D090: D1010005 0001E505
	v_add_f32_e64 v6, v6, 1.0                                  // 00000000D098: D1010006 0001E506
	v_add_f32_e64 v7, v7, 1.0                                  // 00000000D0A0: D1010007 0001E507
	v_rcp_f32_e32 v4, v4                                       // 00000000D0A8: 7E084504
	v_rcp_f32_e32 v5, v5                                       // 00000000D0AC: 7E0A4505
	v_rcp_f32_e32 v6, v6                                       // 00000000D0B0: 7E0C4506
	v_rcp_f32_e32 v7, v7                                       // 00000000D0B4: 7E0E4507
	v_mul_f32_e32 v116, v116, v4                               // 00000000D0B8: 0AE80974
	v_mul_f32_e32 v117, v117, v5                               // 00000000D0BC: 0AEA0B75
	v_mul_f32_e32 v118, v118, v6                               // 00000000D0C0: 0AEC0D76
	v_mul_f32_e32 v119, v119, v7                               // 00000000D0C4: 0AEE0F77
	v_mul_f32_e32 v116, v116, v188                             // 00000000D0C8: 0AE97974
	v_mul_f32_e32 v117, v117, v189                             // 00000000D0CC: 0AEB7B75
	v_mul_f32_e32 v118, v118, v190                             // 00000000D0D0: 0AED7D76
	v_mul_f32_e32 v119, v119, v191                             // 00000000D0D4: 0AEF7F77
	v_mul_f32_e64 v4, -v120, s6                                // 00000000D0D8: D1050004 20000D78
	v_mul_f32_e64 v5, -v121, s6                                // 00000000D0E0: D1050005 20000D79
	v_mul_f32_e64 v6, -v122, s6                                // 00000000D0E8: D1050006 20000D7A
	v_mul_f32_e64 v7, -v123, s6                                // 00000000D0F0: D1050007 20000D7B
	v_exp_f32_e32 v4, v4                                       // 00000000D0F8: 7E084104
	v_exp_f32_e32 v5, v5                                       // 00000000D0FC: 7E0A4105
	v_exp_f32_e32 v6, v6                                       // 00000000D100: 7E0C4106
	v_exp_f32_e32 v7, v7                                       // 00000000D104: 7E0E4107
	v_add_f32_e64 v4, v4, 1.0                                  // 00000000D108: D1010004 0001E504
	v_add_f32_e64 v5, v5, 1.0                                  // 00000000D110: D1010005 0001E505
	v_add_f32_e64 v6, v6, 1.0                                  // 00000000D118: D1010006 0001E506
	v_add_f32_e64 v7, v7, 1.0                                  // 00000000D120: D1010007 0001E507
	v_rcp_f32_e32 v4, v4                                       // 00000000D128: 7E084504
	v_rcp_f32_e32 v5, v5                                       // 00000000D12C: 7E0A4505
	v_rcp_f32_e32 v6, v6                                       // 00000000D130: 7E0C4506
	v_rcp_f32_e32 v7, v7                                       // 00000000D134: 7E0E4507
	v_mul_f32_e32 v120, v120, v4                               // 00000000D138: 0AF00978
	v_mul_f32_e32 v121, v121, v5                               // 00000000D13C: 0AF20B79
	v_mul_f32_e32 v122, v122, v6                               // 00000000D140: 0AF40D7A
	v_mul_f32_e32 v123, v123, v7                               // 00000000D144: 0AF60F7B
	v_mul_f32_e32 v120, v120, v192                             // 00000000D148: 0AF18178
	v_mul_f32_e32 v121, v121, v193                             // 00000000D14C: 0AF38379
	v_mul_f32_e32 v122, v122, v194                             // 00000000D150: 0AF5857A
	v_mul_f32_e32 v123, v123, v195                             // 00000000D154: 0AF7877B
	v_mul_f32_e64 v4, -v124, s6                                // 00000000D158: D1050004 20000D7C
	v_mul_f32_e64 v5, -v125, s6                                // 00000000D160: D1050005 20000D7D
	v_mul_f32_e64 v6, -v126, s6                                // 00000000D168: D1050006 20000D7E
	v_mul_f32_e64 v7, -v127, s6                                // 00000000D170: D1050007 20000D7F
	v_exp_f32_e32 v4, v4                                       // 00000000D178: 7E084104
	v_exp_f32_e32 v5, v5                                       // 00000000D17C: 7E0A4105
	v_exp_f32_e32 v6, v6                                       // 00000000D180: 7E0C4106
	v_exp_f32_e32 v7, v7                                       // 00000000D184: 7E0E4107
	v_add_f32_e64 v4, v4, 1.0                                  // 00000000D188: D1010004 0001E504
	v_add_f32_e64 v5, v5, 1.0                                  // 00000000D190: D1010005 0001E505
	v_add_f32_e64 v6, v6, 1.0                                  // 00000000D198: D1010006 0001E506
	v_add_f32_e64 v7, v7, 1.0                                  // 00000000D1A0: D1010007 0001E507
	v_rcp_f32_e32 v4, v4                                       // 00000000D1A8: 7E084504
	v_rcp_f32_e32 v5, v5                                       // 00000000D1AC: 7E0A4505
	v_rcp_f32_e32 v6, v6                                       // 00000000D1B0: 7E0C4506
	v_rcp_f32_e32 v7, v7                                       // 00000000D1B4: 7E0E4507
	v_mul_f32_e32 v124, v124, v4                               // 00000000D1B8: 0AF8097C
	v_mul_f32_e32 v125, v125, v5                               // 00000000D1BC: 0AFA0B7D
	v_mul_f32_e32 v126, v126, v6                               // 00000000D1C0: 0AFC0D7E
	v_mul_f32_e32 v127, v127, v7                               // 00000000D1C4: 0AFE0F7F
	v_mul_f32_e32 v124, v124, v196                             // 00000000D1C8: 0AF9897C
	v_mul_f32_e32 v125, v125, v197                             // 00000000D1CC: 0AFB8B7D
	v_mul_f32_e32 v126, v126, v198                             // 00000000D1D0: 0AFD8D7E
	v_mul_f32_e32 v127, v127, v199                             // 00000000D1D4: 0AFF8F7F
	v_mul_f32_e64 v4, -v128, s6                                // 00000000D1D8: D1050004 20000D80
	v_mul_f32_e64 v5, -v129, s6                                // 00000000D1E0: D1050005 20000D81
	v_mul_f32_e64 v6, -v130, s6                                // 00000000D1E8: D1050006 20000D82
	v_mul_f32_e64 v7, -v131, s6                                // 00000000D1F0: D1050007 20000D83
	v_exp_f32_e32 v4, v4                                       // 00000000D1F8: 7E084104
	v_exp_f32_e32 v5, v5                                       // 00000000D1FC: 7E0A4105
	v_exp_f32_e32 v6, v6                                       // 00000000D200: 7E0C4106
	v_exp_f32_e32 v7, v7                                       // 00000000D204: 7E0E4107
	v_add_f32_e64 v4, v4, 1.0                                  // 00000000D208: D1010004 0001E504
	v_add_f32_e64 v5, v5, 1.0                                  // 00000000D210: D1010005 0001E505
	v_add_f32_e64 v6, v6, 1.0                                  // 00000000D218: D1010006 0001E506
	v_add_f32_e64 v7, v7, 1.0                                  // 00000000D220: D1010007 0001E507
	v_rcp_f32_e32 v4, v4                                       // 00000000D228: 7E084504
	v_rcp_f32_e32 v5, v5                                       // 00000000D22C: 7E0A4505
	v_rcp_f32_e32 v6, v6                                       // 00000000D230: 7E0C4506
	v_rcp_f32_e32 v7, v7                                       // 00000000D234: 7E0E4507
	v_mul_f32_e32 v128, v128, v4                               // 00000000D238: 0B000980
	v_mul_f32_e32 v129, v129, v5                               // 00000000D23C: 0B020B81
	v_mul_f32_e32 v130, v130, v6                               // 00000000D240: 0B040D82
	v_mul_f32_e32 v131, v131, v7                               // 00000000D244: 0B060F83
	v_mul_f32_e32 v128, v128, v200                             // 00000000D248: 0B019180
	v_mul_f32_e32 v129, v129, v201                             // 00000000D24C: 0B039381
	v_mul_f32_e32 v130, v130, v202                             // 00000000D250: 0B059582
	v_mul_f32_e32 v131, v131, v203                             // 00000000D254: 0B079783
	v_mul_f32_e64 v4, -v132, s6                                // 00000000D258: D1050004 20000D84
	v_mul_f32_e64 v5, -v133, s6                                // 00000000D260: D1050005 20000D85
	v_mul_f32_e64 v6, -v134, s6                                // 00000000D268: D1050006 20000D86
	v_mul_f32_e64 v7, -v135, s6                                // 00000000D270: D1050007 20000D87
	v_exp_f32_e32 v4, v4                                       // 00000000D278: 7E084104
	v_exp_f32_e32 v5, v5                                       // 00000000D27C: 7E0A4105
	v_exp_f32_e32 v6, v6                                       // 00000000D280: 7E0C4106
	v_exp_f32_e32 v7, v7                                       // 00000000D284: 7E0E4107
	v_add_f32_e64 v4, v4, 1.0                                  // 00000000D288: D1010004 0001E504
	v_add_f32_e64 v5, v5, 1.0                                  // 00000000D290: D1010005 0001E505
	v_add_f32_e64 v6, v6, 1.0                                  // 00000000D298: D1010006 0001E506
	v_add_f32_e64 v7, v7, 1.0                                  // 00000000D2A0: D1010007 0001E507
	v_rcp_f32_e32 v4, v4                                       // 00000000D2A8: 7E084504
	v_rcp_f32_e32 v5, v5                                       // 00000000D2AC: 7E0A4505
	v_rcp_f32_e32 v6, v6                                       // 00000000D2B0: 7E0C4506
	v_rcp_f32_e32 v7, v7                                       // 00000000D2B4: 7E0E4507
	v_mul_f32_e32 v132, v132, v4                               // 00000000D2B8: 0B080984
	v_mul_f32_e32 v133, v133, v5                               // 00000000D2BC: 0B0A0B85
	v_mul_f32_e32 v134, v134, v6                               // 00000000D2C0: 0B0C0D86
	v_mul_f32_e32 v135, v135, v7                               // 00000000D2C4: 0B0E0F87
	v_mul_f32_e32 v132, v132, v204                             // 00000000D2C8: 0B099984
	v_mul_f32_e32 v133, v133, v205                             // 00000000D2CC: 0B0B9B85
	v_mul_f32_e32 v134, v134, v206                             // 00000000D2D0: 0B0D9D86
	v_mul_f32_e32 v135, v135, v207                             // 00000000D2D4: 0B0F9F87
	v_mul_f32_e64 v4, -v136, s6                                // 00000000D2D8: D1050004 20000D88
	v_mul_f32_e64 v5, -v137, s6                                // 00000000D2E0: D1050005 20000D89
	v_mul_f32_e64 v6, -v138, s6                                // 00000000D2E8: D1050006 20000D8A
	v_mul_f32_e64 v7, -v139, s6                                // 00000000D2F0: D1050007 20000D8B
	v_exp_f32_e32 v4, v4                                       // 00000000D2F8: 7E084104
	v_exp_f32_e32 v5, v5                                       // 00000000D2FC: 7E0A4105
	v_exp_f32_e32 v6, v6                                       // 00000000D300: 7E0C4106
	v_exp_f32_e32 v7, v7                                       // 00000000D304: 7E0E4107
	v_add_f32_e64 v4, v4, 1.0                                  // 00000000D308: D1010004 0001E504
	v_add_f32_e64 v5, v5, 1.0                                  // 00000000D310: D1010005 0001E505
	v_add_f32_e64 v6, v6, 1.0                                  // 00000000D318: D1010006 0001E506
	v_add_f32_e64 v7, v7, 1.0                                  // 00000000D320: D1010007 0001E507
	v_rcp_f32_e32 v4, v4                                       // 00000000D328: 7E084504
	v_rcp_f32_e32 v5, v5                                       // 00000000D32C: 7E0A4505
	v_rcp_f32_e32 v6, v6                                       // 00000000D330: 7E0C4506
	v_rcp_f32_e32 v7, v7                                       // 00000000D334: 7E0E4507
	v_mul_f32_e32 v136, v136, v4                               // 00000000D338: 0B100988
	v_mul_f32_e32 v137, v137, v5                               // 00000000D33C: 0B120B89
	v_mul_f32_e32 v138, v138, v6                               // 00000000D340: 0B140D8A
	v_mul_f32_e32 v139, v139, v7                               // 00000000D344: 0B160F8B
	v_mul_f32_e32 v136, v136, v208                             // 00000000D348: 0B11A188
	v_mul_f32_e32 v137, v137, v209                             // 00000000D34C: 0B13A389
	v_mul_f32_e32 v138, v138, v210                             // 00000000D350: 0B15A58A
	v_mul_f32_e32 v139, v139, v211                             // 00000000D354: 0B17A78B
	v_mul_f32_e64 v4, -v140, s6                                // 00000000D358: D1050004 20000D8C
	v_mul_f32_e64 v5, -v141, s6                                // 00000000D360: D1050005 20000D8D
	v_mul_f32_e64 v6, -v142, s6                                // 00000000D368: D1050006 20000D8E
	v_mul_f32_e64 v7, -v143, s6                                // 00000000D370: D1050007 20000D8F
	v_exp_f32_e32 v4, v4                                       // 00000000D378: 7E084104
	v_exp_f32_e32 v5, v5                                       // 00000000D37C: 7E0A4105
	v_exp_f32_e32 v6, v6                                       // 00000000D380: 7E0C4106
	v_exp_f32_e32 v7, v7                                       // 00000000D384: 7E0E4107
	v_add_f32_e64 v4, v4, 1.0                                  // 00000000D388: D1010004 0001E504
	v_add_f32_e64 v5, v5, 1.0                                  // 00000000D390: D1010005 0001E505
	v_add_f32_e64 v6, v6, 1.0                                  // 00000000D398: D1010006 0001E506
	v_add_f32_e64 v7, v7, 1.0                                  // 00000000D3A0: D1010007 0001E507
	v_rcp_f32_e32 v4, v4                                       // 00000000D3A8: 7E084504
	v_rcp_f32_e32 v5, v5                                       // 00000000D3AC: 7E0A4505
	v_rcp_f32_e32 v6, v6                                       // 00000000D3B0: 7E0C4506
	v_rcp_f32_e32 v7, v7                                       // 00000000D3B4: 7E0E4507
	v_mul_f32_e32 v140, v140, v4                               // 00000000D3B8: 0B18098C
	v_mul_f32_e32 v141, v141, v5                               // 00000000D3BC: 0B1A0B8D
	v_mul_f32_e32 v142, v142, v6                               // 00000000D3C0: 0B1C0D8E
	v_mul_f32_e32 v143, v143, v7                               // 00000000D3C4: 0B1E0F8F
	v_mul_f32_e32 v140, v140, v212                             // 00000000D3C8: 0B19A98C
	v_mul_f32_e32 v141, v141, v213                             // 00000000D3CC: 0B1BAB8D
	v_mul_f32_e32 v142, v142, v214                             // 00000000D3D0: 0B1DAD8E
	v_mul_f32_e32 v143, v143, v215                             // 00000000D3D4: 0B1FAF8F
	v_mul_f32_e64 v4, -v144, s6                                // 00000000D3D8: D1050004 20000D90
	v_mul_f32_e64 v5, -v145, s6                                // 00000000D3E0: D1050005 20000D91
	v_mul_f32_e64 v6, -v146, s6                                // 00000000D3E8: D1050006 20000D92
	v_mul_f32_e64 v7, -v147, s6                                // 00000000D3F0: D1050007 20000D93
	v_exp_f32_e32 v4, v4                                       // 00000000D3F8: 7E084104
	v_exp_f32_e32 v5, v5                                       // 00000000D3FC: 7E0A4105
	v_exp_f32_e32 v6, v6                                       // 00000000D400: 7E0C4106
	v_exp_f32_e32 v7, v7                                       // 00000000D404: 7E0E4107
	v_add_f32_e64 v4, v4, 1.0                                  // 00000000D408: D1010004 0001E504
	v_add_f32_e64 v5, v5, 1.0                                  // 00000000D410: D1010005 0001E505
	v_add_f32_e64 v6, v6, 1.0                                  // 00000000D418: D1010006 0001E506
	v_add_f32_e64 v7, v7, 1.0                                  // 00000000D420: D1010007 0001E507
	v_rcp_f32_e32 v4, v4                                       // 00000000D428: 7E084504
	v_rcp_f32_e32 v5, v5                                       // 00000000D42C: 7E0A4505
	v_rcp_f32_e32 v6, v6                                       // 00000000D430: 7E0C4506
	v_rcp_f32_e32 v7, v7                                       // 00000000D434: 7E0E4507
	v_mul_f32_e32 v144, v144, v4                               // 00000000D438: 0B200990
	v_mul_f32_e32 v145, v145, v5                               // 00000000D43C: 0B220B91
	v_mul_f32_e32 v146, v146, v6                               // 00000000D440: 0B240D92
	v_mul_f32_e32 v147, v147, v7                               // 00000000D444: 0B260F93
	v_mul_f32_e32 v144, v144, v216                             // 00000000D448: 0B21B190
	v_mul_f32_e32 v145, v145, v217                             // 00000000D44C: 0B23B391
	v_mul_f32_e32 v146, v146, v218                             // 00000000D450: 0B25B592
	v_mul_f32_e32 v147, v147, v219                             // 00000000D454: 0B27B793
	v_mul_f32_e64 v4, -v148, s6                                // 00000000D458: D1050004 20000D94
	v_mul_f32_e64 v5, -v149, s6                                // 00000000D460: D1050005 20000D95
	v_mul_f32_e64 v6, -v150, s6                                // 00000000D468: D1050006 20000D96
	v_mul_f32_e64 v7, -v151, s6                                // 00000000D470: D1050007 20000D97
	v_exp_f32_e32 v4, v4                                       // 00000000D478: 7E084104
	v_exp_f32_e32 v5, v5                                       // 00000000D47C: 7E0A4105
	v_exp_f32_e32 v6, v6                                       // 00000000D480: 7E0C4106
	v_exp_f32_e32 v7, v7                                       // 00000000D484: 7E0E4107
	v_add_f32_e64 v4, v4, 1.0                                  // 00000000D488: D1010004 0001E504
	v_add_f32_e64 v5, v5, 1.0                                  // 00000000D490: D1010005 0001E505
	v_add_f32_e64 v6, v6, 1.0                                  // 00000000D498: D1010006 0001E506
	v_add_f32_e64 v7, v7, 1.0                                  // 00000000D4A0: D1010007 0001E507
	v_rcp_f32_e32 v4, v4                                       // 00000000D4A8: 7E084504
	v_rcp_f32_e32 v5, v5                                       // 00000000D4AC: 7E0A4505
	v_rcp_f32_e32 v6, v6                                       // 00000000D4B0: 7E0C4506
	v_rcp_f32_e32 v7, v7                                       // 00000000D4B4: 7E0E4507
	v_mul_f32_e32 v148, v148, v4                               // 00000000D4B8: 0B280994
	v_mul_f32_e32 v149, v149, v5                               // 00000000D4BC: 0B2A0B95
	v_mul_f32_e32 v150, v150, v6                               // 00000000D4C0: 0B2C0D96
	v_mul_f32_e32 v151, v151, v7                               // 00000000D4C4: 0B2E0F97
	v_mul_f32_e32 v148, v148, v220                             // 00000000D4C8: 0B29B994
	v_mul_f32_e32 v149, v149, v221                             // 00000000D4CC: 0B2BBB95
	v_mul_f32_e32 v150, v150, v222                             // 00000000D4D0: 0B2DBD96
	v_mul_f32_e32 v151, v151, v223                             // 00000000D4D4: 0B2FBF97
	v_mul_f32_e64 v4, -v152, s6                                // 00000000D4D8: D1050004 20000D98
	v_mul_f32_e64 v5, -v153, s6                                // 00000000D4E0: D1050005 20000D99
	v_mul_f32_e64 v6, -v154, s6                                // 00000000D4E8: D1050006 20000D9A
	v_mul_f32_e64 v7, -v155, s6                                // 00000000D4F0: D1050007 20000D9B
	v_exp_f32_e32 v4, v4                                       // 00000000D4F8: 7E084104
	v_exp_f32_e32 v5, v5                                       // 00000000D4FC: 7E0A4105
	v_exp_f32_e32 v6, v6                                       // 00000000D500: 7E0C4106
	v_exp_f32_e32 v7, v7                                       // 00000000D504: 7E0E4107
	v_add_f32_e64 v4, v4, 1.0                                  // 00000000D508: D1010004 0001E504
	v_add_f32_e64 v5, v5, 1.0                                  // 00000000D510: D1010005 0001E505
	v_add_f32_e64 v6, v6, 1.0                                  // 00000000D518: D1010006 0001E506
	v_add_f32_e64 v7, v7, 1.0                                  // 00000000D520: D1010007 0001E507
	v_rcp_f32_e32 v4, v4                                       // 00000000D528: 7E084504
	v_rcp_f32_e32 v5, v5                                       // 00000000D52C: 7E0A4505
	v_rcp_f32_e32 v6, v6                                       // 00000000D530: 7E0C4506
	v_rcp_f32_e32 v7, v7                                       // 00000000D534: 7E0E4507
	v_mul_f32_e32 v152, v152, v4                               // 00000000D538: 0B300998
	v_mul_f32_e32 v153, v153, v5                               // 00000000D53C: 0B320B99
	v_mul_f32_e32 v154, v154, v6                               // 00000000D540: 0B340D9A
	v_mul_f32_e32 v155, v155, v7                               // 00000000D544: 0B360F9B
	v_mul_f32_e32 v152, v152, v224                             // 00000000D548: 0B31C198
	v_mul_f32_e32 v153, v153, v225                             // 00000000D54C: 0B33C399
	v_mul_f32_e32 v154, v154, v226                             // 00000000D550: 0B35C59A
	v_mul_f32_e32 v155, v155, v227                             // 00000000D554: 0B37C79B

000000000000d558 <label_2AD9>:
	s_cmp_eq_u32 s7, 0                                         // 00000000D558: BF068007
	s_cbranch_scc0 label_2AF8                                  // 00000000D55C: BF84001D
	v_and_b32_e32 v4, 15, v0                                   // 00000000D560: 2608008F
	v_lshlrev_b32_e32 v4, 2, v4                                // 00000000D564: 24080882
	buffer_load_dword v28, v4, s[12:15], 0 offen               // 00000000D568: E0501000 80031C04
	v_add_u32_e32 v4, 64, v4                                   // 00000000D570: 680808C0
	buffer_load_dword v29, v4, s[12:15], 0 offen               // 00000000D574: E0501000 80031D04
	v_add_u32_e32 v4, 64, v4                                   // 00000000D57C: 680808C0
	buffer_load_dword v30, v4, s[12:15], 0 offen               // 00000000D580: E0501000 80031E04
	v_add_u32_e32 v4, 64, v4                                   // 00000000D588: 680808C0
	buffer_load_dword v31, v4, s[12:15], 0 offen               // 00000000D58C: E0501000 80031F04
	v_add_u32_e32 v4, 64, v4                                   // 00000000D594: 680808C0
	buffer_load_dword v32, v4, s[12:15], 0 offen               // 00000000D598: E0501000 80032004
	v_add_u32_e32 v4, 64, v4                                   // 00000000D5A0: 680808C0
	buffer_load_dword v33, v4, s[12:15], 0 offen               // 00000000D5A4: E0501000 80032104
	v_add_u32_e32 v4, 64, v4                                   // 00000000D5AC: 680808C0
	buffer_load_dword v34, v4, s[12:15], 0 offen               // 00000000D5B0: E0501000 80032204
	v_add_u32_e32 v4, 64, v4                                   // 00000000D5B8: 680808C0
	buffer_load_dword v35, v4, s[12:15], 0 offen               // 00000000D5BC: E0501000 80032304
	v_add_u32_e32 v4, 64, v4                                   // 00000000D5C4: 680808C0
	buffer_load_dword v36, v4, s[12:15], 0 offen               // 00000000D5C8: E0501000 80032404
	v_add_u32_e32 v4, 64, v4                                   // 00000000D5D0: 680808C0

000000000000d5d4 <label_2AF8>:
	v_lshlrev_b32_e32 v4, 2, v0                                // 00000000D5D4: 24080082
	s_mul_i32 s60, 0x100, s7                                   // 00000000D5D8: 923C07FF 00000100
	v_add_u32_e32 v165, s60, v4                                // 00000000D5E0: 694A083C
	v_and_b32_e32 v4, 15, v0                                   // 00000000D5E4: 2608008F
	v_lshlrev_b32_e32 v166, 2, v4                              // 00000000D5E8: 254C0882
	s_waitcnt lgkmcnt(0)                                       // 00000000D5EC: BF8CC07F
	s_barrier                                                  // 00000000D5F0: BF8A0000
	v_mov_b32_e32 v156, 0x358637bd                             // 00000000D5F4: 7F3802FF 358637BD
	v_max3_f32 v156, |v84|, |v85|, v156                        // 00000000D5FC: D1D3039C 0672AB54
	v_max3_f32 v156, |v86|, |v87|, v156                        // 00000000D604: D1D3039C 0672AF56
	v_max3_f32 v156, |v120|, |v121|, v156                      // 00000000D60C: D1D3039C 0672F378
	v_max3_f32 v156, |v122|, |v123|, v156                      // 00000000D614: D1D3039C 0672F77A
	ds_write_b32 v165, v156                                    // 00000000D61C: D81A0000 00009CA5
	s_waitcnt lgkmcnt(0)                                       // 00000000D624: BF8CC07F
	s_barrier                                                  // 00000000D628: BF8A0000
	ds_read_b32 v4, v166                                       // 00000000D62C: D86C0000 040000A6
	ds_read_b32 v5, v166 offset:64                             // 00000000D634: D86C0040 050000A6
	ds_read_b32 v6, v166 offset:128                            // 00000000D63C: D86C0080 060000A6
	ds_read_b32 v7, v166 offset:192                            // 00000000D644: D86C00C0 070000A6
	ds_read_b32 v8, v166 offset:256                            // 00000000D64C: D86C0100 080000A6
	ds_read_b32 v9, v166 offset:320                            // 00000000D654: D86C0140 090000A6
	ds_read_b32 v10, v166 offset:384                           // 00000000D65C: D86C0180 0A0000A6
	ds_read_b32 v11, v166 offset:448                           // 00000000D664: D86C01C0 0B0000A6
	ds_read_b32 v12, v166 offset:512                           // 00000000D66C: D86C0200 0C0000A6
	ds_read_b32 v13, v166 offset:576                           // 00000000D674: D86C0240 0D0000A6
	ds_read_b32 v14, v166 offset:640                           // 00000000D67C: D86C0280 0E0000A6
	ds_read_b32 v15, v166 offset:704                           // 00000000D684: D86C02C0 0F0000A6
	ds_read_b32 v16, v166 offset:768                           // 00000000D68C: D86C0300 100000A6
	ds_read_b32 v17, v166 offset:832                           // 00000000D694: D86C0340 110000A6
	ds_read_b32 v18, v166 offset:896                           // 00000000D69C: D86C0380 120000A6
	ds_read_b32 v19, v166 offset:960                           // 00000000D6A4: D86C03C0 130000A6
	s_waitcnt lgkmcnt(0)                                       // 00000000D6AC: BF8CC07F
	s_barrier                                                  // 00000000D6B0: BF8A0000
	v_max3_f32 v156, |v4|, |v5|, v156                          // 00000000D6B4: D1D3039C 06720B04
	v_max3_f32 v156, |v6|, |v7|, v156                          // 00000000D6BC: D1D3039C 06720F06
	v_max3_f32 v156, |v8|, |v9|, v156                          // 00000000D6C4: D1D3039C 06721308
	v_max3_f32 v156, |v10|, |v11|, v156                        // 00000000D6CC: D1D3039C 0672170A
	v_max3_f32 v156, |v12|, |v13|, v156                        // 00000000D6D4: D1D3039C 06721B0C
	v_max3_f32 v156, |v14|, |v15|, v156                        // 00000000D6DC: D1D3039C 06721F0E
	v_max3_f32 v156, |v16|, |v17|, v156                        // 00000000D6E4: D1D3039C 06722310
	v_max3_f32 v156, |v18|, |v19|, v156                        // 00000000D6EC: D1D3039C 06722712
	v_rcp_f32_e32 v156, v156                                   // 00000000D6F4: 7F38459C
	v_mov_b32_e32 v4, 0x43700000                               // 00000000D6F8: 7E0802FF 43700000
	v_mul_f32_e32 v156, v4, v156                               // 00000000D700: 0B393904
	v_mov_b32_e32 v4, v156                                     // 00000000D704: 7E08039C
	v_mov_b32_e32 v5, v4                                       // 00000000D708: 7E0A0304
	v_pk_mul_f32 v[84:85], v[4:5], v[84:85]                    // 00000000D70C: D3B14054 1802A904
	v_pk_mul_f32 v[86:87], v[4:5], v[86:87]                    // 00000000D714: D3B14056 1802AD04
	v_cvt_pk_fp8_f32 v84, v84, v85                             // 00000000D71C: D2A20054 0002AB54
	v_cvt_pk_fp8_f32 v84, v86, v87 op_sel:[0,0,1]              // 00000000D724: D2A24054 0002AF56
	v_pk_mul_f32 v[120:121], v[4:5], v[120:121]                // 00000000D72C: D3B14078 1802F104
	v_pk_mul_f32 v[122:123], v[4:5], v[122:123]                // 00000000D734: D3B1407A 1802F504
	v_cvt_pk_fp8_f32 v120, v120, v121                          // 00000000D73C: D2A20078 0002F378
	v_cvt_pk_fp8_f32 v120, v122, v123 op_sel:[0,0,1]           // 00000000D744: D2A24078 0002F77A
	v_rcp_f32_e32 v156, v156                                   // 00000000D74C: 7F38459C
	v_mov_b32_e32 v157, 0x358637bd                             // 00000000D750: 7F3A02FF 358637BD
	v_max3_f32 v157, |v88|, |v89|, v157                        // 00000000D758: D1D3039D 0676B358
	v_max3_f32 v157, |v90|, |v91|, v157                        // 00000000D760: D1D3039D 0676B75A
	v_max3_f32 v157, |v124|, |v125|, v157                      // 00000000D768: D1D3039D 0676FB7C
	v_max3_f32 v157, |v126|, |v127|, v157                      // 00000000D770: D1D3039D 0676FF7E
	ds_write_b32 v165, v157                                    // 00000000D778: D81A0000 00009DA5
	s_waitcnt lgkmcnt(0)                                       // 00000000D780: BF8CC07F
	s_barrier                                                  // 00000000D784: BF8A0000
	ds_read_b32 v4, v166                                       // 00000000D788: D86C0000 040000A6
	ds_read_b32 v5, v166 offset:64                             // 00000000D790: D86C0040 050000A6
	ds_read_b32 v6, v166 offset:128                            // 00000000D798: D86C0080 060000A6
	ds_read_b32 v7, v166 offset:192                            // 00000000D7A0: D86C00C0 070000A6
	ds_read_b32 v8, v166 offset:256                            // 00000000D7A8: D86C0100 080000A6
	ds_read_b32 v9, v166 offset:320                            // 00000000D7B0: D86C0140 090000A6
	ds_read_b32 v10, v166 offset:384                           // 00000000D7B8: D86C0180 0A0000A6
	ds_read_b32 v11, v166 offset:448                           // 00000000D7C0: D86C01C0 0B0000A6
	ds_read_b32 v12, v166 offset:512                           // 00000000D7C8: D86C0200 0C0000A6
	ds_read_b32 v13, v166 offset:576                           // 00000000D7D0: D86C0240 0D0000A6
	ds_read_b32 v14, v166 offset:640                           // 00000000D7D8: D86C0280 0E0000A6
	ds_read_b32 v15, v166 offset:704                           // 00000000D7E0: D86C02C0 0F0000A6
	ds_read_b32 v16, v166 offset:768                           // 00000000D7E8: D86C0300 100000A6
	ds_read_b32 v17, v166 offset:832                           // 00000000D7F0: D86C0340 110000A6
	ds_read_b32 v18, v166 offset:896                           // 00000000D7F8: D86C0380 120000A6
	ds_read_b32 v19, v166 offset:960                           // 00000000D800: D86C03C0 130000A6
	s_waitcnt lgkmcnt(0)                                       // 00000000D808: BF8CC07F
	s_barrier                                                  // 00000000D80C: BF8A0000
	v_max3_f32 v157, |v4|, |v5|, v157                          // 00000000D810: D1D3039D 06760B04
	v_max3_f32 v157, |v6|, |v7|, v157                          // 00000000D818: D1D3039D 06760F06
	v_max3_f32 v157, |v8|, |v9|, v157                          // 00000000D820: D1D3039D 06761308
	v_max3_f32 v157, |v10|, |v11|, v157                        // 00000000D828: D1D3039D 0676170A
	v_max3_f32 v157, |v12|, |v13|, v157                        // 00000000D830: D1D3039D 06761B0C
	v_max3_f32 v157, |v14|, |v15|, v157                        // 00000000D838: D1D3039D 06761F0E
	v_max3_f32 v157, |v16|, |v17|, v157                        // 00000000D840: D1D3039D 06762310
	v_max3_f32 v157, |v18|, |v19|, v157                        // 00000000D848: D1D3039D 06762712
	v_rcp_f32_e32 v157, v157                                   // 00000000D850: 7F3A459D
	v_mov_b32_e32 v4, 0x43700000                               // 00000000D854: 7E0802FF 43700000
	v_mul_f32_e32 v157, v4, v157                               // 00000000D85C: 0B3B3B04
	v_mov_b32_e32 v4, v157                                     // 00000000D860: 7E08039D
	v_mov_b32_e32 v5, v4                                       // 00000000D864: 7E0A0304
	v_pk_mul_f32 v[88:89], v[4:5], v[88:89]                    // 00000000D868: D3B14058 1802B104
	v_pk_mul_f32 v[90:91], v[4:5], v[90:91]                    // 00000000D870: D3B1405A 1802B504
	v_cvt_pk_fp8_f32 v88, v88, v89                             // 00000000D878: D2A20058 0002B358
	v_cvt_pk_fp8_f32 v88, v90, v91 op_sel:[0,0,1]              // 00000000D880: D2A24058 0002B75A
	v_pk_mul_f32 v[124:125], v[4:5], v[124:125]                // 00000000D888: D3B1407C 1802F904
	v_pk_mul_f32 v[126:127], v[4:5], v[126:127]                // 00000000D890: D3B1407E 1802FD04
	v_cvt_pk_fp8_f32 v124, v124, v125                          // 00000000D898: D2A2007C 0002FB7C
	v_cvt_pk_fp8_f32 v124, v126, v127 op_sel:[0,0,1]           // 00000000D8A0: D2A2407C 0002FF7E
	v_rcp_f32_e32 v157, v157                                   // 00000000D8A8: 7F3A459D
	v_mov_b32_e32 v158, 0x358637bd                             // 00000000D8AC: 7F3C02FF 358637BD
	v_max3_f32 v158, |v92|, |v93|, v158                        // 00000000D8B4: D1D3039E 067ABB5C
	v_max3_f32 v158, |v94|, |v95|, v158                        // 00000000D8BC: D1D3039E 067ABF5E
	v_max3_f32 v158, |v128|, |v129|, v158                      // 00000000D8C4: D1D3039E 067B0380
	v_max3_f32 v158, |v130|, |v131|, v158                      // 00000000D8CC: D1D3039E 067B0782
	ds_write_b32 v165, v158                                    // 00000000D8D4: D81A0000 00009EA5
	s_waitcnt lgkmcnt(0)                                       // 00000000D8DC: BF8CC07F
	s_barrier                                                  // 00000000D8E0: BF8A0000
	ds_read_b32 v4, v166                                       // 00000000D8E4: D86C0000 040000A6
	ds_read_b32 v5, v166 offset:64                             // 00000000D8EC: D86C0040 050000A6
	ds_read_b32 v6, v166 offset:128                            // 00000000D8F4: D86C0080 060000A6
	ds_read_b32 v7, v166 offset:192                            // 00000000D8FC: D86C00C0 070000A6
	ds_read_b32 v8, v166 offset:256                            // 00000000D904: D86C0100 080000A6
	ds_read_b32 v9, v166 offset:320                            // 00000000D90C: D86C0140 090000A6
	ds_read_b32 v10, v166 offset:384                           // 00000000D914: D86C0180 0A0000A6
	ds_read_b32 v11, v166 offset:448                           // 00000000D91C: D86C01C0 0B0000A6
	ds_read_b32 v12, v166 offset:512                           // 00000000D924: D86C0200 0C0000A6
	ds_read_b32 v13, v166 offset:576                           // 00000000D92C: D86C0240 0D0000A6
	ds_read_b32 v14, v166 offset:640                           // 00000000D934: D86C0280 0E0000A6
	ds_read_b32 v15, v166 offset:704                           // 00000000D93C: D86C02C0 0F0000A6
	ds_read_b32 v16, v166 offset:768                           // 00000000D944: D86C0300 100000A6
	ds_read_b32 v17, v166 offset:832                           // 00000000D94C: D86C0340 110000A6
	ds_read_b32 v18, v166 offset:896                           // 00000000D954: D86C0380 120000A6
	ds_read_b32 v19, v166 offset:960                           // 00000000D95C: D86C03C0 130000A6
	s_waitcnt lgkmcnt(0)                                       // 00000000D964: BF8CC07F
	s_barrier                                                  // 00000000D968: BF8A0000
	v_max3_f32 v158, |v4|, |v5|, v158                          // 00000000D96C: D1D3039E 067A0B04
	v_max3_f32 v158, |v6|, |v7|, v158                          // 00000000D974: D1D3039E 067A0F06
	v_max3_f32 v158, |v8|, |v9|, v158                          // 00000000D97C: D1D3039E 067A1308
	v_max3_f32 v158, |v10|, |v11|, v158                        // 00000000D984: D1D3039E 067A170A
	v_max3_f32 v158, |v12|, |v13|, v158                        // 00000000D98C: D1D3039E 067A1B0C
	v_max3_f32 v158, |v14|, |v15|, v158                        // 00000000D994: D1D3039E 067A1F0E
	v_max3_f32 v158, |v16|, |v17|, v158                        // 00000000D99C: D1D3039E 067A2310
	v_max3_f32 v158, |v18|, |v19|, v158                        // 00000000D9A4: D1D3039E 067A2712
	v_rcp_f32_e32 v158, v158                                   // 00000000D9AC: 7F3C459E
	v_mov_b32_e32 v4, 0x43700000                               // 00000000D9B0: 7E0802FF 43700000
	v_mul_f32_e32 v158, v4, v158                               // 00000000D9B8: 0B3D3D04
	v_mov_b32_e32 v4, v158                                     // 00000000D9BC: 7E08039E
	v_mov_b32_e32 v5, v4                                       // 00000000D9C0: 7E0A0304
	v_pk_mul_f32 v[92:93], v[4:5], v[92:93]                    // 00000000D9C4: D3B1405C 1802B904
	v_pk_mul_f32 v[94:95], v[4:5], v[94:95]                    // 00000000D9CC: D3B1405E 1802BD04
	v_cvt_pk_fp8_f32 v92, v92, v93                             // 00000000D9D4: D2A2005C 0002BB5C
	v_cvt_pk_fp8_f32 v92, v94, v95 op_sel:[0,0,1]              // 00000000D9DC: D2A2405C 0002BF5E
	v_pk_mul_f32 v[128:129], v[4:5], v[128:129]                // 00000000D9E4: D3B14080 18030104
	v_pk_mul_f32 v[130:131], v[4:5], v[130:131]                // 00000000D9EC: D3B14082 18030504
	v_cvt_pk_fp8_f32 v128, v128, v129                          // 00000000D9F4: D2A20080 00030380
	v_cvt_pk_fp8_f32 v128, v130, v131 op_sel:[0,0,1]           // 00000000D9FC: D2A24080 00030782
	v_rcp_f32_e32 v158, v158                                   // 00000000DA04: 7F3C459E
	v_mov_b32_e32 v159, 0x358637bd                             // 00000000DA08: 7F3E02FF 358637BD
	v_max3_f32 v159, |v96|, |v97|, v159                        // 00000000DA10: D1D3039F 067EC360
	v_max3_f32 v159, |v98|, |v99|, v159                        // 00000000DA18: D1D3039F 067EC762
	v_max3_f32 v159, |v132|, |v133|, v159                      // 00000000DA20: D1D3039F 067F0B84
	v_max3_f32 v159, |v134|, |v135|, v159                      // 00000000DA28: D1D3039F 067F0F86
	ds_write_b32 v165, v159                                    // 00000000DA30: D81A0000 00009FA5
	s_waitcnt lgkmcnt(0)                                       // 00000000DA38: BF8CC07F
	s_barrier                                                  // 00000000DA3C: BF8A0000
	ds_read_b32 v4, v166                                       // 00000000DA40: D86C0000 040000A6
	ds_read_b32 v5, v166 offset:64                             // 00000000DA48: D86C0040 050000A6
	ds_read_b32 v6, v166 offset:128                            // 00000000DA50: D86C0080 060000A6
	ds_read_b32 v7, v166 offset:192                            // 00000000DA58: D86C00C0 070000A6
	ds_read_b32 v8, v166 offset:256                            // 00000000DA60: D86C0100 080000A6
	ds_read_b32 v9, v166 offset:320                            // 00000000DA68: D86C0140 090000A6
	ds_read_b32 v10, v166 offset:384                           // 00000000DA70: D86C0180 0A0000A6
	ds_read_b32 v11, v166 offset:448                           // 00000000DA78: D86C01C0 0B0000A6
	ds_read_b32 v12, v166 offset:512                           // 00000000DA80: D86C0200 0C0000A6
	ds_read_b32 v13, v166 offset:576                           // 00000000DA88: D86C0240 0D0000A6
	ds_read_b32 v14, v166 offset:640                           // 00000000DA90: D86C0280 0E0000A6
	ds_read_b32 v15, v166 offset:704                           // 00000000DA98: D86C02C0 0F0000A6
	ds_read_b32 v16, v166 offset:768                           // 00000000DAA0: D86C0300 100000A6
	ds_read_b32 v17, v166 offset:832                           // 00000000DAA8: D86C0340 110000A6
	ds_read_b32 v18, v166 offset:896                           // 00000000DAB0: D86C0380 120000A6
	ds_read_b32 v19, v166 offset:960                           // 00000000DAB8: D86C03C0 130000A6
	s_waitcnt lgkmcnt(0)                                       // 00000000DAC0: BF8CC07F
	s_barrier                                                  // 00000000DAC4: BF8A0000
	v_max3_f32 v159, |v4|, |v5|, v159                          // 00000000DAC8: D1D3039F 067E0B04
	v_max3_f32 v159, |v6|, |v7|, v159                          // 00000000DAD0: D1D3039F 067E0F06
	v_max3_f32 v159, |v8|, |v9|, v159                          // 00000000DAD8: D1D3039F 067E1308
	v_max3_f32 v159, |v10|, |v11|, v159                        // 00000000DAE0: D1D3039F 067E170A
	v_max3_f32 v159, |v12|, |v13|, v159                        // 00000000DAE8: D1D3039F 067E1B0C
	v_max3_f32 v159, |v14|, |v15|, v159                        // 00000000DAF0: D1D3039F 067E1F0E
	v_max3_f32 v159, |v16|, |v17|, v159                        // 00000000DAF8: D1D3039F 067E2310
	v_max3_f32 v159, |v18|, |v19|, v159                        // 00000000DB00: D1D3039F 067E2712
	v_rcp_f32_e32 v159, v159                                   // 00000000DB08: 7F3E459F
	v_mov_b32_e32 v4, 0x43700000                               // 00000000DB0C: 7E0802FF 43700000
	v_mul_f32_e32 v159, v4, v159                               // 00000000DB14: 0B3F3F04
	v_mov_b32_e32 v4, v159                                     // 00000000DB18: 7E08039F
	v_mov_b32_e32 v5, v4                                       // 00000000DB1C: 7E0A0304
	v_pk_mul_f32 v[96:97], v[4:5], v[96:97]                    // 00000000DB20: D3B14060 1802C104
	v_pk_mul_f32 v[98:99], v[4:5], v[98:99]                    // 00000000DB28: D3B14062 1802C504
	v_cvt_pk_fp8_f32 v96, v96, v97                             // 00000000DB30: D2A20060 0002C360
	v_cvt_pk_fp8_f32 v96, v98, v99 op_sel:[0,0,1]              // 00000000DB38: D2A24060 0002C762
	v_pk_mul_f32 v[132:133], v[4:5], v[132:133]                // 00000000DB40: D3B14084 18030904
	v_pk_mul_f32 v[134:135], v[4:5], v[134:135]                // 00000000DB48: D3B14086 18030D04
	v_cvt_pk_fp8_f32 v132, v132, v133                          // 00000000DB50: D2A20084 00030B84
	v_cvt_pk_fp8_f32 v132, v134, v135 op_sel:[0,0,1]           // 00000000DB58: D2A24084 00030F86
	v_rcp_f32_e32 v159, v159                                   // 00000000DB60: 7F3E459F
	v_mov_b32_e32 v160, 0x358637bd                             // 00000000DB64: 7F4002FF 358637BD
	v_max3_f32 v160, |v100|, |v101|, v160                      // 00000000DB6C: D1D303A0 0682CB64
	v_max3_f32 v160, |v102|, |v103|, v160                      // 00000000DB74: D1D303A0 0682CF66
	v_max3_f32 v160, |v136|, |v137|, v160                      // 00000000DB7C: D1D303A0 06831388
	v_max3_f32 v160, |v138|, |v139|, v160                      // 00000000DB84: D1D303A0 0683178A
	ds_write_b32 v165, v160                                    // 00000000DB8C: D81A0000 0000A0A5
	s_waitcnt lgkmcnt(0)                                       // 00000000DB94: BF8CC07F
	s_barrier                                                  // 00000000DB98: BF8A0000
	ds_read_b32 v4, v166                                       // 00000000DB9C: D86C0000 040000A6
	ds_read_b32 v5, v166 offset:64                             // 00000000DBA4: D86C0040 050000A6
	ds_read_b32 v6, v166 offset:128                            // 00000000DBAC: D86C0080 060000A6
	ds_read_b32 v7, v166 offset:192                            // 00000000DBB4: D86C00C0 070000A6
	ds_read_b32 v8, v166 offset:256                            // 00000000DBBC: D86C0100 080000A6
	ds_read_b32 v9, v166 offset:320                            // 00000000DBC4: D86C0140 090000A6
	ds_read_b32 v10, v166 offset:384                           // 00000000DBCC: D86C0180 0A0000A6
	ds_read_b32 v11, v166 offset:448                           // 00000000DBD4: D86C01C0 0B0000A6
	ds_read_b32 v12, v166 offset:512                           // 00000000DBDC: D86C0200 0C0000A6
	ds_read_b32 v13, v166 offset:576                           // 00000000DBE4: D86C0240 0D0000A6
	ds_read_b32 v14, v166 offset:640                           // 00000000DBEC: D86C0280 0E0000A6
	ds_read_b32 v15, v166 offset:704                           // 00000000DBF4: D86C02C0 0F0000A6
	ds_read_b32 v16, v166 offset:768                           // 00000000DBFC: D86C0300 100000A6
	ds_read_b32 v17, v166 offset:832                           // 00000000DC04: D86C0340 110000A6
	ds_read_b32 v18, v166 offset:896                           // 00000000DC0C: D86C0380 120000A6
	ds_read_b32 v19, v166 offset:960                           // 00000000DC14: D86C03C0 130000A6
	s_waitcnt lgkmcnt(0)                                       // 00000000DC1C: BF8CC07F
	s_barrier                                                  // 00000000DC20: BF8A0000
	v_max3_f32 v160, |v4|, |v5|, v160                          // 00000000DC24: D1D303A0 06820B04
	v_max3_f32 v160, |v6|, |v7|, v160                          // 00000000DC2C: D1D303A0 06820F06
	v_max3_f32 v160, |v8|, |v9|, v160                          // 00000000DC34: D1D303A0 06821308
	v_max3_f32 v160, |v10|, |v11|, v160                        // 00000000DC3C: D1D303A0 0682170A
	v_max3_f32 v160, |v12|, |v13|, v160                        // 00000000DC44: D1D303A0 06821B0C
	v_max3_f32 v160, |v14|, |v15|, v160                        // 00000000DC4C: D1D303A0 06821F0E
	v_max3_f32 v160, |v16|, |v17|, v160                        // 00000000DC54: D1D303A0 06822310
	v_max3_f32 v160, |v18|, |v19|, v160                        // 00000000DC5C: D1D303A0 06822712
	v_rcp_f32_e32 v160, v160                                   // 00000000DC64: 7F4045A0
	v_mov_b32_e32 v4, 0x43700000                               // 00000000DC68: 7E0802FF 43700000
	v_mul_f32_e32 v160, v4, v160                               // 00000000DC70: 0B414104
	v_mov_b32_e32 v4, v160                                     // 00000000DC74: 7E0803A0
	v_mov_b32_e32 v5, v4                                       // 00000000DC78: 7E0A0304
	v_pk_mul_f32 v[100:101], v[4:5], v[100:101]                // 00000000DC7C: D3B14064 1802C904
	v_pk_mul_f32 v[102:103], v[4:5], v[102:103]                // 00000000DC84: D3B14066 1802CD04
	v_cvt_pk_fp8_f32 v100, v100, v101                          // 00000000DC8C: D2A20064 0002CB64
	v_cvt_pk_fp8_f32 v100, v102, v103 op_sel:[0,0,1]           // 00000000DC94: D2A24064 0002CF66
	v_pk_mul_f32 v[136:137], v[4:5], v[136:137]                // 00000000DC9C: D3B14088 18031104
	v_pk_mul_f32 v[138:139], v[4:5], v[138:139]                // 00000000DCA4: D3B1408A 18031504
	v_cvt_pk_fp8_f32 v136, v136, v137                          // 00000000DCAC: D2A20088 00031388
	v_cvt_pk_fp8_f32 v136, v138, v139 op_sel:[0,0,1]           // 00000000DCB4: D2A24088 0003178A
	v_rcp_f32_e32 v160, v160                                   // 00000000DCBC: 7F4045A0
	v_mov_b32_e32 v161, 0x358637bd                             // 00000000DCC0: 7F4202FF 358637BD
	v_max3_f32 v161, |v104|, |v105|, v161                      // 00000000DCC8: D1D303A1 0686D368
	v_max3_f32 v161, |v106|, |v107|, v161                      // 00000000DCD0: D1D303A1 0686D76A
	v_max3_f32 v161, |v140|, |v141|, v161                      // 00000000DCD8: D1D303A1 06871B8C
	v_max3_f32 v161, |v142|, |v143|, v161                      // 00000000DCE0: D1D303A1 06871F8E
	ds_write_b32 v165, v161                                    // 00000000DCE8: D81A0000 0000A1A5
	s_waitcnt lgkmcnt(0)                                       // 00000000DCF0: BF8CC07F
	s_barrier                                                  // 00000000DCF4: BF8A0000
	ds_read_b32 v4, v166                                       // 00000000DCF8: D86C0000 040000A6
	ds_read_b32 v5, v166 offset:64                             // 00000000DD00: D86C0040 050000A6
	ds_read_b32 v6, v166 offset:128                            // 00000000DD08: D86C0080 060000A6
	ds_read_b32 v7, v166 offset:192                            // 00000000DD10: D86C00C0 070000A6
	ds_read_b32 v8, v166 offset:256                            // 00000000DD18: D86C0100 080000A6
	ds_read_b32 v9, v166 offset:320                            // 00000000DD20: D86C0140 090000A6
	ds_read_b32 v10, v166 offset:384                           // 00000000DD28: D86C0180 0A0000A6
	ds_read_b32 v11, v166 offset:448                           // 00000000DD30: D86C01C0 0B0000A6
	ds_read_b32 v12, v166 offset:512                           // 00000000DD38: D86C0200 0C0000A6
	ds_read_b32 v13, v166 offset:576                           // 00000000DD40: D86C0240 0D0000A6
	ds_read_b32 v14, v166 offset:640                           // 00000000DD48: D86C0280 0E0000A6
	ds_read_b32 v15, v166 offset:704                           // 00000000DD50: D86C02C0 0F0000A6
	ds_read_b32 v16, v166 offset:768                           // 00000000DD58: D86C0300 100000A6
	ds_read_b32 v17, v166 offset:832                           // 00000000DD60: D86C0340 110000A6
	ds_read_b32 v18, v166 offset:896                           // 00000000DD68: D86C0380 120000A6
	ds_read_b32 v19, v166 offset:960                           // 00000000DD70: D86C03C0 130000A6
	s_waitcnt lgkmcnt(0)                                       // 00000000DD78: BF8CC07F
	s_barrier                                                  // 00000000DD7C: BF8A0000
	v_max3_f32 v161, |v4|, |v5|, v161                          // 00000000DD80: D1D303A1 06860B04
	v_max3_f32 v161, |v6|, |v7|, v161                          // 00000000DD88: D1D303A1 06860F06
	v_max3_f32 v161, |v8|, |v9|, v161                          // 00000000DD90: D1D303A1 06861308
	v_max3_f32 v161, |v10|, |v11|, v161                        // 00000000DD98: D1D303A1 0686170A
	v_max3_f32 v161, |v12|, |v13|, v161                        // 00000000DDA0: D1D303A1 06861B0C
	v_max3_f32 v161, |v14|, |v15|, v161                        // 00000000DDA8: D1D303A1 06861F0E
	v_max3_f32 v161, |v16|, |v17|, v161                        // 00000000DDB0: D1D303A1 06862310
	v_max3_f32 v161, |v18|, |v19|, v161                        // 00000000DDB8: D1D303A1 06862712
	v_rcp_f32_e32 v161, v161                                   // 00000000DDC0: 7F4245A1
	v_mov_b32_e32 v4, 0x43700000                               // 00000000DDC4: 7E0802FF 43700000
	v_mul_f32_e32 v161, v4, v161                               // 00000000DDCC: 0B434304
	v_mov_b32_e32 v4, v161                                     // 00000000DDD0: 7E0803A1
	v_mov_b32_e32 v5, v4                                       // 00000000DDD4: 7E0A0304
	v_pk_mul_f32 v[104:105], v[4:5], v[104:105]                // 00000000DDD8: D3B14068 1802D104
	v_pk_mul_f32 v[106:107], v[4:5], v[106:107]                // 00000000DDE0: D3B1406A 1802D504
	v_cvt_pk_fp8_f32 v104, v104, v105                          // 00000000DDE8: D2A20068 0002D368
	v_cvt_pk_fp8_f32 v104, v106, v107 op_sel:[0,0,1]           // 00000000DDF0: D2A24068 0002D76A
	v_pk_mul_f32 v[140:141], v[4:5], v[140:141]                // 00000000DDF8: D3B1408C 18031904
	v_pk_mul_f32 v[142:143], v[4:5], v[142:143]                // 00000000DE00: D3B1408E 18031D04
	v_cvt_pk_fp8_f32 v140, v140, v141                          // 00000000DE08: D2A2008C 00031B8C
	v_cvt_pk_fp8_f32 v140, v142, v143 op_sel:[0,0,1]           // 00000000DE10: D2A2408C 00031F8E
	v_rcp_f32_e32 v161, v161                                   // 00000000DE18: 7F4245A1
	v_mov_b32_e32 v162, 0x358637bd                             // 00000000DE1C: 7F4402FF 358637BD
	v_max3_f32 v162, |v108|, |v109|, v162                      // 00000000DE24: D1D303A2 068ADB6C
	v_max3_f32 v162, |v110|, |v111|, v162                      // 00000000DE2C: D1D303A2 068ADF6E
	v_max3_f32 v162, |v144|, |v145|, v162                      // 00000000DE34: D1D303A2 068B2390
	v_max3_f32 v162, |v146|, |v147|, v162                      // 00000000DE3C: D1D303A2 068B2792
	ds_write_b32 v165, v162                                    // 00000000DE44: D81A0000 0000A2A5
	s_waitcnt lgkmcnt(0)                                       // 00000000DE4C: BF8CC07F
	s_barrier                                                  // 00000000DE50: BF8A0000
	ds_read_b32 v4, v166                                       // 00000000DE54: D86C0000 040000A6
	ds_read_b32 v5, v166 offset:64                             // 00000000DE5C: D86C0040 050000A6
	ds_read_b32 v6, v166 offset:128                            // 00000000DE64: D86C0080 060000A6
	ds_read_b32 v7, v166 offset:192                            // 00000000DE6C: D86C00C0 070000A6
	ds_read_b32 v8, v166 offset:256                            // 00000000DE74: D86C0100 080000A6
	ds_read_b32 v9, v166 offset:320                            // 00000000DE7C: D86C0140 090000A6
	ds_read_b32 v10, v166 offset:384                           // 00000000DE84: D86C0180 0A0000A6
	ds_read_b32 v11, v166 offset:448                           // 00000000DE8C: D86C01C0 0B0000A6
	ds_read_b32 v12, v166 offset:512                           // 00000000DE94: D86C0200 0C0000A6
	ds_read_b32 v13, v166 offset:576                           // 00000000DE9C: D86C0240 0D0000A6
	ds_read_b32 v14, v166 offset:640                           // 00000000DEA4: D86C0280 0E0000A6
	ds_read_b32 v15, v166 offset:704                           // 00000000DEAC: D86C02C0 0F0000A6
	ds_read_b32 v16, v166 offset:768                           // 00000000DEB4: D86C0300 100000A6
	ds_read_b32 v17, v166 offset:832                           // 00000000DEBC: D86C0340 110000A6
	ds_read_b32 v18, v166 offset:896                           // 00000000DEC4: D86C0380 120000A6
	ds_read_b32 v19, v166 offset:960                           // 00000000DECC: D86C03C0 130000A6
	s_waitcnt lgkmcnt(0)                                       // 00000000DED4: BF8CC07F
	s_barrier                                                  // 00000000DED8: BF8A0000
	v_max3_f32 v162, |v4|, |v5|, v162                          // 00000000DEDC: D1D303A2 068A0B04
	v_max3_f32 v162, |v6|, |v7|, v162                          // 00000000DEE4: D1D303A2 068A0F06
	v_max3_f32 v162, |v8|, |v9|, v162                          // 00000000DEEC: D1D303A2 068A1308
	v_max3_f32 v162, |v10|, |v11|, v162                        // 00000000DEF4: D1D303A2 068A170A
	v_max3_f32 v162, |v12|, |v13|, v162                        // 00000000DEFC: D1D303A2 068A1B0C
	v_max3_f32 v162, |v14|, |v15|, v162                        // 00000000DF04: D1D303A2 068A1F0E
	v_max3_f32 v162, |v16|, |v17|, v162                        // 00000000DF0C: D1D303A2 068A2310
	v_max3_f32 v162, |v18|, |v19|, v162                        // 00000000DF14: D1D303A2 068A2712
	v_rcp_f32_e32 v162, v162                                   // 00000000DF1C: 7F4445A2
	v_mov_b32_e32 v4, 0x43700000                               // 00000000DF20: 7E0802FF 43700000
	v_mul_f32_e32 v162, v4, v162                               // 00000000DF28: 0B454504
	v_mov_b32_e32 v4, v162                                     // 00000000DF2C: 7E0803A2
	v_mov_b32_e32 v5, v4                                       // 00000000DF30: 7E0A0304
	v_pk_mul_f32 v[108:109], v[4:5], v[108:109]                // 00000000DF34: D3B1406C 1802D904
	v_pk_mul_f32 v[110:111], v[4:5], v[110:111]                // 00000000DF3C: D3B1406E 1802DD04
	v_cvt_pk_fp8_f32 v108, v108, v109                          // 00000000DF44: D2A2006C 0002DB6C
	v_cvt_pk_fp8_f32 v108, v110, v111 op_sel:[0,0,1]           // 00000000DF4C: D2A2406C 0002DF6E
	v_pk_mul_f32 v[144:145], v[4:5], v[144:145]                // 00000000DF54: D3B14090 18032104
	v_pk_mul_f32 v[146:147], v[4:5], v[146:147]                // 00000000DF5C: D3B14092 18032504
	v_cvt_pk_fp8_f32 v144, v144, v145                          // 00000000DF64: D2A20090 00032390
	v_cvt_pk_fp8_f32 v144, v146, v147 op_sel:[0,0,1]           // 00000000DF6C: D2A24090 00032792
	v_rcp_f32_e32 v162, v162                                   // 00000000DF74: 7F4445A2
	v_mov_b32_e32 v163, 0x358637bd                             // 00000000DF78: 7F4602FF 358637BD
	v_max3_f32 v163, |v112|, |v113|, v163                      // 00000000DF80: D1D303A3 068EE370
	v_max3_f32 v163, |v114|, |v115|, v163                      // 00000000DF88: D1D303A3 068EE772
	v_max3_f32 v163, |v148|, |v149|, v163                      // 00000000DF90: D1D303A3 068F2B94
	v_max3_f32 v163, |v150|, |v151|, v163                      // 00000000DF98: D1D303A3 068F2F96
	ds_write_b32 v165, v163                                    // 00000000DFA0: D81A0000 0000A3A5
	s_waitcnt lgkmcnt(0)                                       // 00000000DFA8: BF8CC07F
	s_barrier                                                  // 00000000DFAC: BF8A0000
	ds_read_b32 v4, v166                                       // 00000000DFB0: D86C0000 040000A6
	ds_read_b32 v5, v166 offset:64                             // 00000000DFB8: D86C0040 050000A6
	ds_read_b32 v6, v166 offset:128                            // 00000000DFC0: D86C0080 060000A6
	ds_read_b32 v7, v166 offset:192                            // 00000000DFC8: D86C00C0 070000A6
	ds_read_b32 v8, v166 offset:256                            // 00000000DFD0: D86C0100 080000A6
	ds_read_b32 v9, v166 offset:320                            // 00000000DFD8: D86C0140 090000A6
	ds_read_b32 v10, v166 offset:384                           // 00000000DFE0: D86C0180 0A0000A6
	ds_read_b32 v11, v166 offset:448                           // 00000000DFE8: D86C01C0 0B0000A6
	ds_read_b32 v12, v166 offset:512                           // 00000000DFF0: D86C0200 0C0000A6
	ds_read_b32 v13, v166 offset:576                           // 00000000DFF8: D86C0240 0D0000A6
	ds_read_b32 v14, v166 offset:640                           // 00000000E000: D86C0280 0E0000A6
	ds_read_b32 v15, v166 offset:704                           // 00000000E008: D86C02C0 0F0000A6
	ds_read_b32 v16, v166 offset:768                           // 00000000E010: D86C0300 100000A6
	ds_read_b32 v17, v166 offset:832                           // 00000000E018: D86C0340 110000A6
	ds_read_b32 v18, v166 offset:896                           // 00000000E020: D86C0380 120000A6
	ds_read_b32 v19, v166 offset:960                           // 00000000E028: D86C03C0 130000A6
	s_waitcnt lgkmcnt(0)                                       // 00000000E030: BF8CC07F
	s_barrier                                                  // 00000000E034: BF8A0000
	v_max3_f32 v163, |v4|, |v5|, v163                          // 00000000E038: D1D303A3 068E0B04
	v_max3_f32 v163, |v6|, |v7|, v163                          // 00000000E040: D1D303A3 068E0F06
	v_max3_f32 v163, |v8|, |v9|, v163                          // 00000000E048: D1D303A3 068E1308
	v_max3_f32 v163, |v10|, |v11|, v163                        // 00000000E050: D1D303A3 068E170A
	v_max3_f32 v163, |v12|, |v13|, v163                        // 00000000E058: D1D303A3 068E1B0C
	v_max3_f32 v163, |v14|, |v15|, v163                        // 00000000E060: D1D303A3 068E1F0E
	v_max3_f32 v163, |v16|, |v17|, v163                        // 00000000E068: D1D303A3 068E2310
	v_max3_f32 v163, |v18|, |v19|, v163                        // 00000000E070: D1D303A3 068E2712
	v_rcp_f32_e32 v163, v163                                   // 00000000E078: 7F4645A3
	v_mov_b32_e32 v4, 0x43700000                               // 00000000E07C: 7E0802FF 43700000
	v_mul_f32_e32 v163, v4, v163                               // 00000000E084: 0B474704
	v_mov_b32_e32 v4, v163                                     // 00000000E088: 7E0803A3
	v_mov_b32_e32 v5, v4                                       // 00000000E08C: 7E0A0304
	v_pk_mul_f32 v[112:113], v[4:5], v[112:113]                // 00000000E090: D3B14070 1802E104
	v_pk_mul_f32 v[114:115], v[4:5], v[114:115]                // 00000000E098: D3B14072 1802E504
	v_cvt_pk_fp8_f32 v112, v112, v113                          // 00000000E0A0: D2A20070 0002E370
	v_cvt_pk_fp8_f32 v112, v114, v115 op_sel:[0,0,1]           // 00000000E0A8: D2A24070 0002E772
	v_pk_mul_f32 v[148:149], v[4:5], v[148:149]                // 00000000E0B0: D3B14094 18032904
	v_pk_mul_f32 v[150:151], v[4:5], v[150:151]                // 00000000E0B8: D3B14096 18032D04
	v_cvt_pk_fp8_f32 v148, v148, v149                          // 00000000E0C0: D2A20094 00032B94
	v_cvt_pk_fp8_f32 v148, v150, v151 op_sel:[0,0,1]           // 00000000E0C8: D2A24094 00032F96
	v_rcp_f32_e32 v163, v163                                   // 00000000E0D0: 7F4645A3
	v_mov_b32_e32 v164, 0x358637bd                             // 00000000E0D4: 7F4802FF 358637BD
	v_max3_f32 v164, |v116|, |v117|, v164                      // 00000000E0DC: D1D303A4 0692EB74
	v_max3_f32 v164, |v118|, |v119|, v164                      // 00000000E0E4: D1D303A4 0692EF76
	v_max3_f32 v164, |v152|, |v153|, v164                      // 00000000E0EC: D1D303A4 06933398
	v_max3_f32 v164, |v154|, |v155|, v164                      // 00000000E0F4: D1D303A4 0693379A
	ds_write_b32 v165, v164                                    // 00000000E0FC: D81A0000 0000A4A5
	s_waitcnt lgkmcnt(0)                                       // 00000000E104: BF8CC07F
	s_barrier                                                  // 00000000E108: BF8A0000
	ds_read_b32 v4, v166                                       // 00000000E10C: D86C0000 040000A6
	ds_read_b32 v5, v166 offset:64                             // 00000000E114: D86C0040 050000A6
	ds_read_b32 v6, v166 offset:128                            // 00000000E11C: D86C0080 060000A6
	ds_read_b32 v7, v166 offset:192                            // 00000000E124: D86C00C0 070000A6
	ds_read_b32 v8, v166 offset:256                            // 00000000E12C: D86C0100 080000A6
	ds_read_b32 v9, v166 offset:320                            // 00000000E134: D86C0140 090000A6
	ds_read_b32 v10, v166 offset:384                           // 00000000E13C: D86C0180 0A0000A6
	ds_read_b32 v11, v166 offset:448                           // 00000000E144: D86C01C0 0B0000A6
	ds_read_b32 v12, v166 offset:512                           // 00000000E14C: D86C0200 0C0000A6
	ds_read_b32 v13, v166 offset:576                           // 00000000E154: D86C0240 0D0000A6
	ds_read_b32 v14, v166 offset:640                           // 00000000E15C: D86C0280 0E0000A6
	ds_read_b32 v15, v166 offset:704                           // 00000000E164: D86C02C0 0F0000A6
	ds_read_b32 v16, v166 offset:768                           // 00000000E16C: D86C0300 100000A6
	ds_read_b32 v17, v166 offset:832                           // 00000000E174: D86C0340 110000A6
	ds_read_b32 v18, v166 offset:896                           // 00000000E17C: D86C0380 120000A6
	ds_read_b32 v19, v166 offset:960                           // 00000000E184: D86C03C0 130000A6
	s_waitcnt lgkmcnt(0)                                       // 00000000E18C: BF8CC07F
	s_barrier                                                  // 00000000E190: BF8A0000
	v_max3_f32 v164, |v4|, |v5|, v164                          // 00000000E194: D1D303A4 06920B04
	v_max3_f32 v164, |v6|, |v7|, v164                          // 00000000E19C: D1D303A4 06920F06
	v_max3_f32 v164, |v8|, |v9|, v164                          // 00000000E1A4: D1D303A4 06921308
	v_max3_f32 v164, |v10|, |v11|, v164                        // 00000000E1AC: D1D303A4 0692170A
	v_max3_f32 v164, |v12|, |v13|, v164                        // 00000000E1B4: D1D303A4 06921B0C
	v_max3_f32 v164, |v14|, |v15|, v164                        // 00000000E1BC: D1D303A4 06921F0E
	v_max3_f32 v164, |v16|, |v17|, v164                        // 00000000E1C4: D1D303A4 06922310
	v_max3_f32 v164, |v18|, |v19|, v164                        // 00000000E1CC: D1D303A4 06922712
	v_rcp_f32_e32 v164, v164                                   // 00000000E1D4: 7F4845A4
	v_mov_b32_e32 v4, 0x43700000                               // 00000000E1D8: 7E0802FF 43700000
	v_mul_f32_e32 v164, v4, v164                               // 00000000E1E0: 0B494904
	v_mov_b32_e32 v4, v164                                     // 00000000E1E4: 7E0803A4
	v_mov_b32_e32 v5, v4                                       // 00000000E1E8: 7E0A0304
	v_pk_mul_f32 v[116:117], v[4:5], v[116:117]                // 00000000E1EC: D3B14074 1802E904
	v_pk_mul_f32 v[118:119], v[4:5], v[118:119]                // 00000000E1F4: D3B14076 1802ED04
	v_cvt_pk_fp8_f32 v116, v116, v117                          // 00000000E1FC: D2A20074 0002EB74
	v_cvt_pk_fp8_f32 v116, v118, v119 op_sel:[0,0,1]           // 00000000E204: D2A24074 0002EF76
	v_pk_mul_f32 v[152:153], v[4:5], v[152:153]                // 00000000E20C: D3B14098 18033104
	v_pk_mul_f32 v[154:155], v[4:5], v[154:155]                // 00000000E214: D3B1409A 18033504
	v_cvt_pk_fp8_f32 v152, v152, v153                          // 00000000E21C: D2A20098 00033398
	v_cvt_pk_fp8_f32 v152, v154, v155 op_sel:[0,0,1]           // 00000000E224: D2A24098 0003379A
	v_rcp_f32_e32 v164, v164                                   // 00000000E22C: 7F4845A4
	v_lshrrev_b32_e32 v4, 5, v0                                // 00000000E230: 20080085
	v_mul_lo_u32 v20, 34, v4                                   // 00000000E234: D2850014 000208A2
	v_and_b32_e32 v4, 31, v0                                   // 00000000E23C: 2608009F
	v_lshrrev_b32_e32 v5, 4, v4                                // 00000000E240: 200A0884
	v_add_u32_e32 v20, v5, v20                                 // 00000000E244: 68282905
	v_and_b32_e32 v4, 15, v0                                   // 00000000E248: 2608008F
	v_mul_lo_u32 v5, 2, v4                                     // 00000000E24C: D2850005 00020882
	v_add_u32_e32 v20, v5, v20                                 // 00000000E254: 68282905
	s_mul_i32 s60, s7, 0x44                                    // 00000000E258: 923CFF07 00000044
	v_add_u32_e32 v20, s60, v20                                // 00000000E260: 6828283C
	v_lshlrev_b32_e32 v20, 2, v20                              // 00000000E264: 24282882
	ds_write_b32 v20, v84                                      // 00000000E268: D81A0000 00005414
	ds_write_b32 v20, v88 offset:2176                          // 00000000E270: D81A0880 00005814
	ds_write_b32 v20, v92 offset:4352                          // 00000000E278: D81A1100 00005C14
	ds_write_b32 v20, v96 offset:6528                          // 00000000E280: D81A1980 00006014
	ds_write_b32 v20, v100 offset:8704                         // 00000000E288: D81A2200 00006414
	ds_write_b32 v20, v104 offset:10880                        // 00000000E290: D81A2A80 00006814
	ds_write_b32 v20, v108 offset:13056                        // 00000000E298: D81A3300 00006C14
	ds_write_b32 v20, v112 offset:15232                        // 00000000E2A0: D81A3B80 00007014
	ds_write_b32 v20, v116 offset:17408                        // 00000000E2A8: D81A4400 00007414
	ds_write_b32 v20, v120 offset:1088                         // 00000000E2B0: D81A0440 00007814
	ds_write_b32 v20, v124 offset:3264                         // 00000000E2B8: D81A0CC0 00007C14
	ds_write_b32 v20, v128 offset:5440                         // 00000000E2C0: D81A1540 00008014
	ds_write_b32 v20, v132 offset:7616                         // 00000000E2C8: D81A1DC0 00008414
	ds_write_b32 v20, v136 offset:9792                         // 00000000E2D0: D81A2640 00008814
	ds_write_b32 v20, v140 offset:11968                        // 00000000E2D8: D81A2EC0 00008C14
	ds_write_b32 v20, v144 offset:14144                        // 00000000E2E0: D81A3740 00009014
	ds_write_b32 v20, v148 offset:16320                        // 00000000E2E8: D81A3FC0 00009414
	ds_write_b32 v20, v152 offset:18496                        // 00000000E2F0: D81A4840 00009814
	v_lshrrev_b32_e32 v4, 5, v0                                // 00000000E2F8: 20080085
	v_xor_b32_e32 v5, 1, v4                                    // 00000000E2FC: 2A0A0881
	s_mul_i32 s60, s65, 1                                      // 00000000E300: 923C8141
	s_cmp_eq_u32 s88, 0                                        // 00000000E304: BF068058
	s_cselect_b32 s61, 1, 8                                    // 00000000E308: 853D8881
	s_mul_i32 s60, s61, s60                                    // 00000000E30C: 923C3C3D
	v_readlane_b32 s82, v3, 0                                  // 00000000E310: D2890052 00010103
	s_lshr_b32 s61, s82, 24                                    // 00000000E318: 8F3D9852
	s_and_b32 s82, s82, 0xffffff                               // 00000000E31C: 8652FF52 00FFFFFF
	s_mul_i32 s82, s82, s71                                    // 00000000E324: 92524752
	s_mul_i32 s61, s60, s61                                    // 00000000E328: 923D3D3C
	s_add_u32 s82, s82, s61                                    // 00000000E32C: 80523D52
	v_mul_lo_u32 v6, v5, s82                                   // 00000000E330: D2850006 0000A505
	v_readlane_b32 s82, v3, 1                                  // 00000000E338: D2890052 00010303
	s_lshr_b32 s61, s82, 24                                    // 00000000E340: 8F3D9852
	s_and_b32 s82, s82, 0xffffff                               // 00000000E344: 8652FF52 00FFFFFF
	s_mul_i32 s82, s82, s71                                    // 00000000E34C: 92524752
	s_mul_i32 s61, s60, s61                                    // 00000000E350: 923D3D3C
	s_add_u32 s82, s82, s61                                    // 00000000E354: 80523D52
	v_mul_lo_u32 v7, v4, s82                                   // 00000000E358: D2850007 0000A504
	v_add_u32_e32 v64, v6, v7                                  // 00000000E360: 68800F06
	v_readlane_b32 s82, v3, 2                                  // 00000000E364: D2890052 00010503
	s_lshr_b32 s61, s82, 24                                    // 00000000E36C: 8F3D9852
	s_and_b32 s82, s82, 0xffffff                               // 00000000E370: 8652FF52 00FFFFFF
	s_mul_i32 s82, s82, s71                                    // 00000000E378: 92524752
	s_mul_i32 s61, s60, s61                                    // 00000000E37C: 923D3D3C
	s_add_u32 s82, s82, s61                                    // 00000000E380: 80523D52
	v_mul_lo_u32 v6, v5, s82                                   // 00000000E384: D2850006 0000A505
	v_readlane_b32 s82, v3, 3                                  // 00000000E38C: D2890052 00010703
	s_lshr_b32 s61, s82, 24                                    // 00000000E394: 8F3D9852
	s_and_b32 s82, s82, 0xffffff                               // 00000000E398: 8652FF52 00FFFFFF
	s_mul_i32 s82, s82, s71                                    // 00000000E3A0: 92524752
	s_mul_i32 s61, s60, s61                                    // 00000000E3A4: 923D3D3C
	s_add_u32 s82, s82, s61                                    // 00000000E3A8: 80523D52
	v_mul_lo_u32 v7, v4, s82                                   // 00000000E3AC: D2850007 0000A504
	v_add_u32_e32 v65, v6, v7                                  // 00000000E3B4: 68820F06
	v_readlane_b32 s82, v3, 4                                  // 00000000E3B8: D2890052 00010903
	s_lshr_b32 s61, s82, 24                                    // 00000000E3C0: 8F3D9852
	s_and_b32 s82, s82, 0xffffff                               // 00000000E3C4: 8652FF52 00FFFFFF
	s_mul_i32 s82, s82, s71                                    // 00000000E3CC: 92524752
	s_mul_i32 s61, s60, s61                                    // 00000000E3D0: 923D3D3C
	s_add_u32 s82, s82, s61                                    // 00000000E3D4: 80523D52
	v_mul_lo_u32 v6, v5, s82                                   // 00000000E3D8: D2850006 0000A505
	v_readlane_b32 s82, v3, 5                                  // 00000000E3E0: D2890052 00010B03
	s_lshr_b32 s61, s82, 24                                    // 00000000E3E8: 8F3D9852
	s_and_b32 s82, s82, 0xffffff                               // 00000000E3EC: 8652FF52 00FFFFFF
	s_mul_i32 s82, s82, s71                                    // 00000000E3F4: 92524752
	s_mul_i32 s61, s60, s61                                    // 00000000E3F8: 923D3D3C
	s_add_u32 s82, s82, s61                                    // 00000000E3FC: 80523D52
	v_mul_lo_u32 v7, v4, s82                                   // 00000000E400: D2850007 0000A504
	v_add_u32_e32 v66, v6, v7                                  // 00000000E408: 68840F06
	v_readlane_b32 s82, v3, 6                                  // 00000000E40C: D2890052 00010D03
	s_lshr_b32 s61, s82, 24                                    // 00000000E414: 8F3D9852
	s_and_b32 s82, s82, 0xffffff                               // 00000000E418: 8652FF52 00FFFFFF
	s_mul_i32 s82, s82, s71                                    // 00000000E420: 92524752
	s_mul_i32 s61, s60, s61                                    // 00000000E424: 923D3D3C
	s_add_u32 s82, s82, s61                                    // 00000000E428: 80523D52
	v_mul_lo_u32 v6, v5, s82                                   // 00000000E42C: D2850006 0000A505
	v_readlane_b32 s82, v3, 7                                  // 00000000E434: D2890052 00010F03
	s_lshr_b32 s61, s82, 24                                    // 00000000E43C: 8F3D9852
	s_and_b32 s82, s82, 0xffffff                               // 00000000E440: 8652FF52 00FFFFFF
	s_mul_i32 s82, s82, s71                                    // 00000000E448: 92524752
	s_mul_i32 s61, s60, s61                                    // 00000000E44C: 923D3D3C
	s_add_u32 s82, s82, s61                                    // 00000000E450: 80523D52
	v_mul_lo_u32 v7, v4, s82                                   // 00000000E454: D2850007 0000A504
	v_add_u32_e32 v67, v6, v7                                  // 00000000E45C: 68860F06
	v_readlane_b32 s82, v3, 8                                  // 00000000E460: D2890052 00011103
	s_lshr_b32 s61, s82, 24                                    // 00000000E468: 8F3D9852
	s_and_b32 s82, s82, 0xffffff                               // 00000000E46C: 8652FF52 00FFFFFF
	s_mul_i32 s82, s82, s71                                    // 00000000E474: 92524752
	s_mul_i32 s61, s60, s61                                    // 00000000E478: 923D3D3C
	s_add_u32 s82, s82, s61                                    // 00000000E47C: 80523D52
	v_mul_lo_u32 v6, v5, s82                                   // 00000000E480: D2850006 0000A505
	v_readlane_b32 s82, v3, 9                                  // 00000000E488: D2890052 00011303
	s_lshr_b32 s61, s82, 24                                    // 00000000E490: 8F3D9852
	s_and_b32 s82, s82, 0xffffff                               // 00000000E494: 8652FF52 00FFFFFF
	s_mul_i32 s82, s82, s71                                    // 00000000E49C: 92524752
	s_mul_i32 s61, s60, s61                                    // 00000000E4A0: 923D3D3C
	s_add_u32 s82, s82, s61                                    // 00000000E4A4: 80523D52
	v_mul_lo_u32 v7, v4, s82                                   // 00000000E4A8: D2850007 0000A504
	v_add_u32_e32 v68, v6, v7                                  // 00000000E4B0: 68880F06
	v_readlane_b32 s82, v3, 10                                 // 00000000E4B4: D2890052 00011503
	s_lshr_b32 s61, s82, 24                                    // 00000000E4BC: 8F3D9852
	s_and_b32 s82, s82, 0xffffff                               // 00000000E4C0: 8652FF52 00FFFFFF
	s_mul_i32 s82, s82, s71                                    // 00000000E4C8: 92524752
	s_mul_i32 s61, s60, s61                                    // 00000000E4CC: 923D3D3C
	s_add_u32 s82, s82, s61                                    // 00000000E4D0: 80523D52
	v_mul_lo_u32 v6, v5, s82                                   // 00000000E4D4: D2850006 0000A505
	v_readlane_b32 s82, v3, 11                                 // 00000000E4DC: D2890052 00011703
	s_lshr_b32 s61, s82, 24                                    // 00000000E4E4: 8F3D9852
	s_and_b32 s82, s82, 0xffffff                               // 00000000E4E8: 8652FF52 00FFFFFF
	s_mul_i32 s82, s82, s71                                    // 00000000E4F0: 92524752
	s_mul_i32 s61, s60, s61                                    // 00000000E4F4: 923D3D3C
	s_add_u32 s82, s82, s61                                    // 00000000E4F8: 80523D52
	v_mul_lo_u32 v7, v4, s82                                   // 00000000E4FC: D2850007 0000A504
	v_add_u32_e32 v69, v6, v7                                  // 00000000E504: 688A0F06
	v_readlane_b32 s82, v3, 12                                 // 00000000E508: D2890052 00011903
	s_lshr_b32 s61, s82, 24                                    // 00000000E510: 8F3D9852
	s_and_b32 s82, s82, 0xffffff                               // 00000000E514: 8652FF52 00FFFFFF
	s_mul_i32 s82, s82, s71                                    // 00000000E51C: 92524752
	s_mul_i32 s61, s60, s61                                    // 00000000E520: 923D3D3C
	s_add_u32 s82, s82, s61                                    // 00000000E524: 80523D52
	v_mul_lo_u32 v6, v5, s82                                   // 00000000E528: D2850006 0000A505
	v_readlane_b32 s82, v3, 13                                 // 00000000E530: D2890052 00011B03
	s_lshr_b32 s61, s82, 24                                    // 00000000E538: 8F3D9852
	s_and_b32 s82, s82, 0xffffff                               // 00000000E53C: 8652FF52 00FFFFFF
	s_mul_i32 s82, s82, s71                                    // 00000000E544: 92524752
	s_mul_i32 s61, s60, s61                                    // 00000000E548: 923D3D3C
	s_add_u32 s82, s82, s61                                    // 00000000E54C: 80523D52
	v_mul_lo_u32 v7, v4, s82                                   // 00000000E550: D2850007 0000A504
	v_add_u32_e32 v70, v6, v7                                  // 00000000E558: 688C0F06
	v_readlane_b32 s82, v3, 14                                 // 00000000E55C: D2890052 00011D03
	s_lshr_b32 s61, s82, 24                                    // 00000000E564: 8F3D9852
	s_and_b32 s82, s82, 0xffffff                               // 00000000E568: 8652FF52 00FFFFFF
	s_mul_i32 s82, s82, s71                                    // 00000000E570: 92524752
	s_mul_i32 s61, s60, s61                                    // 00000000E574: 923D3D3C
	s_add_u32 s82, s82, s61                                    // 00000000E578: 80523D52
	v_mul_lo_u32 v6, v5, s82                                   // 00000000E57C: D2850006 0000A505
	v_readlane_b32 s82, v3, 15                                 // 00000000E584: D2890052 00011F03
	s_lshr_b32 s61, s82, 24                                    // 00000000E58C: 8F3D9852
	s_and_b32 s82, s82, 0xffffff                               // 00000000E590: 8652FF52 00FFFFFF
	s_mul_i32 s82, s82, s71                                    // 00000000E598: 92524752
	s_mul_i32 s61, s60, s61                                    // 00000000E59C: 923D3D3C
	s_add_u32 s82, s82, s61                                    // 00000000E5A0: 80523D52
	v_mul_lo_u32 v7, v4, s82                                   // 00000000E5A4: D2850007 0000A504
	v_add_u32_e32 v71, v6, v7                                  // 00000000E5AC: 688E0F06
	v_readlane_b32 s82, v3, 16                                 // 00000000E5B0: D2890052 00012103
	s_lshr_b32 s61, s82, 24                                    // 00000000E5B8: 8F3D9852
	s_and_b32 s82, s82, 0xffffff                               // 00000000E5BC: 8652FF52 00FFFFFF
	s_mul_i32 s82, s82, s71                                    // 00000000E5C4: 92524752
	s_mul_i32 s61, s60, s61                                    // 00000000E5C8: 923D3D3C
	s_add_u32 s82, s82, s61                                    // 00000000E5CC: 80523D52
	v_mul_lo_u32 v6, v5, s82                                   // 00000000E5D0: D2850006 0000A505
	v_readlane_b32 s82, v3, 17                                 // 00000000E5D8: D2890052 00012303
	s_lshr_b32 s61, s82, 24                                    // 00000000E5E0: 8F3D9852
	s_and_b32 s82, s82, 0xffffff                               // 00000000E5E4: 8652FF52 00FFFFFF
	s_mul_i32 s82, s82, s71                                    // 00000000E5EC: 92524752
	s_mul_i32 s61, s60, s61                                    // 00000000E5F0: 923D3D3C
	s_add_u32 s82, s82, s61                                    // 00000000E5F4: 80523D52
	v_mul_lo_u32 v7, v4, s82                                   // 00000000E5F8: D2850007 0000A504
	v_add_u32_e32 v72, v6, v7                                  // 00000000E600: 68900F06
	v_readlane_b32 s82, v3, 18                                 // 00000000E604: D2890052 00012503
	s_lshr_b32 s61, s82, 24                                    // 00000000E60C: 8F3D9852
	s_and_b32 s82, s82, 0xffffff                               // 00000000E610: 8652FF52 00FFFFFF
	s_mul_i32 s82, s82, s71                                    // 00000000E618: 92524752
	s_mul_i32 s61, s60, s61                                    // 00000000E61C: 923D3D3C
	s_add_u32 s82, s82, s61                                    // 00000000E620: 80523D52
	v_mul_lo_u32 v6, v5, s82                                   // 00000000E624: D2850006 0000A505
	v_readlane_b32 s82, v3, 19                                 // 00000000E62C: D2890052 00012703
	s_lshr_b32 s61, s82, 24                                    // 00000000E634: 8F3D9852
	s_and_b32 s82, s82, 0xffffff                               // 00000000E638: 8652FF52 00FFFFFF
	s_mul_i32 s82, s82, s71                                    // 00000000E640: 92524752
	s_mul_i32 s61, s60, s61                                    // 00000000E644: 923D3D3C
	s_add_u32 s82, s82, s61                                    // 00000000E648: 80523D52
	v_mul_lo_u32 v7, v4, s82                                   // 00000000E64C: D2850007 0000A504
	v_add_u32_e32 v73, v6, v7                                  // 00000000E654: 68920F06
	v_readlane_b32 s82, v3, 20                                 // 00000000E658: D2890052 00012903
	s_lshr_b32 s61, s82, 24                                    // 00000000E660: 8F3D9852
	s_and_b32 s82, s82, 0xffffff                               // 00000000E664: 8652FF52 00FFFFFF
	s_mul_i32 s82, s82, s71                                    // 00000000E66C: 92524752
	s_mul_i32 s61, s60, s61                                    // 00000000E670: 923D3D3C
	s_add_u32 s82, s82, s61                                    // 00000000E674: 80523D52
	v_mul_lo_u32 v6, v5, s82                                   // 00000000E678: D2850006 0000A505
	v_readlane_b32 s82, v3, 21                                 // 00000000E680: D2890052 00012B03
	s_lshr_b32 s61, s82, 24                                    // 00000000E688: 8F3D9852
	s_and_b32 s82, s82, 0xffffff                               // 00000000E68C: 8652FF52 00FFFFFF
	s_mul_i32 s82, s82, s71                                    // 00000000E694: 92524752
	s_mul_i32 s61, s60, s61                                    // 00000000E698: 923D3D3C
	s_add_u32 s82, s82, s61                                    // 00000000E69C: 80523D52
	v_mul_lo_u32 v7, v4, s82                                   // 00000000E6A0: D2850007 0000A504
	v_add_u32_e32 v74, v6, v7                                  // 00000000E6A8: 68940F06
	v_readlane_b32 s82, v3, 22                                 // 00000000E6AC: D2890052 00012D03
	s_lshr_b32 s61, s82, 24                                    // 00000000E6B4: 8F3D9852
	s_and_b32 s82, s82, 0xffffff                               // 00000000E6B8: 8652FF52 00FFFFFF
	s_mul_i32 s82, s82, s71                                    // 00000000E6C0: 92524752
	s_mul_i32 s61, s60, s61                                    // 00000000E6C4: 923D3D3C
	s_add_u32 s82, s82, s61                                    // 00000000E6C8: 80523D52
	v_mul_lo_u32 v6, v5, s82                                   // 00000000E6CC: D2850006 0000A505
	v_readlane_b32 s82, v3, 23                                 // 00000000E6D4: D2890052 00012F03
	s_lshr_b32 s61, s82, 24                                    // 00000000E6DC: 8F3D9852
	s_and_b32 s82, s82, 0xffffff                               // 00000000E6E0: 8652FF52 00FFFFFF
	s_mul_i32 s82, s82, s71                                    // 00000000E6E8: 92524752
	s_mul_i32 s61, s60, s61                                    // 00000000E6EC: 923D3D3C
	s_add_u32 s82, s82, s61                                    // 00000000E6F0: 80523D52
	v_mul_lo_u32 v7, v4, s82                                   // 00000000E6F4: D2850007 0000A504
	v_add_u32_e32 v75, v6, v7                                  // 00000000E6FC: 68960F06
	v_readlane_b32 s82, v3, 24                                 // 00000000E700: D2890052 00013103
	s_lshr_b32 s61, s82, 24                                    // 00000000E708: 8F3D9852
	s_and_b32 s82, s82, 0xffffff                               // 00000000E70C: 8652FF52 00FFFFFF
	s_mul_i32 s82, s82, s71                                    // 00000000E714: 92524752
	s_mul_i32 s61, s60, s61                                    // 00000000E718: 923D3D3C
	s_add_u32 s82, s82, s61                                    // 00000000E71C: 80523D52
	v_mul_lo_u32 v6, v5, s82                                   // 00000000E720: D2850006 0000A505
	v_readlane_b32 s82, v3, 25                                 // 00000000E728: D2890052 00013303
	s_lshr_b32 s61, s82, 24                                    // 00000000E730: 8F3D9852
	s_and_b32 s82, s82, 0xffffff                               // 00000000E734: 8652FF52 00FFFFFF
	s_mul_i32 s82, s82, s71                                    // 00000000E73C: 92524752
	s_mul_i32 s61, s60, s61                                    // 00000000E740: 923D3D3C
	s_add_u32 s82, s82, s61                                    // 00000000E744: 80523D52
	v_mul_lo_u32 v7, v4, s82                                   // 00000000E748: D2850007 0000A504
	v_add_u32_e32 v76, v6, v7                                  // 00000000E750: 68980F06
	v_readlane_b32 s82, v3, 26                                 // 00000000E754: D2890052 00013503
	s_lshr_b32 s61, s82, 24                                    // 00000000E75C: 8F3D9852
	s_and_b32 s82, s82, 0xffffff                               // 00000000E760: 8652FF52 00FFFFFF
	s_mul_i32 s82, s82, s71                                    // 00000000E768: 92524752
	s_mul_i32 s61, s60, s61                                    // 00000000E76C: 923D3D3C
	s_add_u32 s82, s82, s61                                    // 00000000E770: 80523D52
	v_mul_lo_u32 v6, v5, s82                                   // 00000000E774: D2850006 0000A505
	v_readlane_b32 s82, v3, 27                                 // 00000000E77C: D2890052 00013703
	s_lshr_b32 s61, s82, 24                                    // 00000000E784: 8F3D9852
	s_and_b32 s82, s82, 0xffffff                               // 00000000E788: 8652FF52 00FFFFFF
	s_mul_i32 s82, s82, s71                                    // 00000000E790: 92524752
	s_mul_i32 s61, s60, s61                                    // 00000000E794: 923D3D3C
	s_add_u32 s82, s82, s61                                    // 00000000E798: 80523D52
	v_mul_lo_u32 v7, v4, s82                                   // 00000000E79C: D2850007 0000A504
	v_add_u32_e32 v77, v6, v7                                  // 00000000E7A4: 689A0F06
	v_readlane_b32 s82, v3, 28                                 // 00000000E7A8: D2890052 00013903
	s_lshr_b32 s61, s82, 24                                    // 00000000E7B0: 8F3D9852
	s_and_b32 s82, s82, 0xffffff                               // 00000000E7B4: 8652FF52 00FFFFFF
	s_mul_i32 s82, s82, s71                                    // 00000000E7BC: 92524752
	s_mul_i32 s61, s60, s61                                    // 00000000E7C0: 923D3D3C
	s_add_u32 s82, s82, s61                                    // 00000000E7C4: 80523D52
	v_mul_lo_u32 v6, v5, s82                                   // 00000000E7C8: D2850006 0000A505
	v_readlane_b32 s82, v3, 29                                 // 00000000E7D0: D2890052 00013B03
	s_lshr_b32 s61, s82, 24                                    // 00000000E7D8: 8F3D9852
	s_and_b32 s82, s82, 0xffffff                               // 00000000E7DC: 8652FF52 00FFFFFF
	s_mul_i32 s82, s82, s71                                    // 00000000E7E4: 92524752
	s_mul_i32 s61, s60, s61                                    // 00000000E7E8: 923D3D3C
	s_add_u32 s82, s82, s61                                    // 00000000E7EC: 80523D52
	v_mul_lo_u32 v7, v4, s82                                   // 00000000E7F0: D2850007 0000A504
	v_add_u32_e32 v78, v6, v7                                  // 00000000E7F8: 689C0F06
	v_readlane_b32 s82, v3, 30                                 // 00000000E7FC: D2890052 00013D03
	s_lshr_b32 s61, s82, 24                                    // 00000000E804: 8F3D9852
	s_and_b32 s82, s82, 0xffffff                               // 00000000E808: 8652FF52 00FFFFFF
	s_mul_i32 s82, s82, s71                                    // 00000000E810: 92524752
	s_mul_i32 s61, s60, s61                                    // 00000000E814: 923D3D3C
	s_add_u32 s82, s82, s61                                    // 00000000E818: 80523D52
	v_mul_lo_u32 v6, v5, s82                                   // 00000000E81C: D2850006 0000A505
	v_readlane_b32 s82, v3, 31                                 // 00000000E824: D2890052 00013F03
	s_lshr_b32 s61, s82, 24                                    // 00000000E82C: 8F3D9852
	s_and_b32 s82, s82, 0xffffff                               // 00000000E830: 8652FF52 00FFFFFF
	s_mul_i32 s82, s82, s71                                    // 00000000E838: 92524752
	s_mul_i32 s61, s60, s61                                    // 00000000E83C: 923D3D3C
	s_add_u32 s82, s82, s61                                    // 00000000E840: 80523D52
	v_mul_lo_u32 v7, v4, s82                                   // 00000000E844: D2850007 0000A504
	v_add_u32_e32 v79, v6, v7                                  // 00000000E84C: 689E0F06
	v_readlane_b32 s82, v3, 32                                 // 00000000E850: D2890052 00014103
	s_lshr_b32 s61, s82, 24                                    // 00000000E858: 8F3D9852
	s_and_b32 s82, s82, 0xffffff                               // 00000000E85C: 8652FF52 00FFFFFF
	s_mul_i32 s82, s82, s71                                    // 00000000E864: 92524752
	s_mul_i32 s61, s60, s61                                    // 00000000E868: 923D3D3C
	s_add_u32 s82, s82, s61                                    // 00000000E86C: 80523D52
	v_mul_lo_u32 v6, v5, s82                                   // 00000000E870: D2850006 0000A505
	v_readlane_b32 s82, v3, 33                                 // 00000000E878: D2890052 00014303
	s_lshr_b32 s61, s82, 24                                    // 00000000E880: 8F3D9852
	s_and_b32 s82, s82, 0xffffff                               // 00000000E884: 8652FF52 00FFFFFF
	s_mul_i32 s82, s82, s71                                    // 00000000E88C: 92524752
	s_mul_i32 s61, s60, s61                                    // 00000000E890: 923D3D3C
	s_add_u32 s82, s82, s61                                    // 00000000E894: 80523D52
	v_mul_lo_u32 v7, v4, s82                                   // 00000000E898: D2850007 0000A504
	v_add_u32_e32 v80, v6, v7                                  // 00000000E8A0: 68A00F06
	v_readlane_b32 s82, v3, 34                                 // 00000000E8A4: D2890052 00014503
	s_lshr_b32 s61, s82, 24                                    // 00000000E8AC: 8F3D9852
	s_and_b32 s82, s82, 0xffffff                               // 00000000E8B0: 8652FF52 00FFFFFF
	s_mul_i32 s82, s82, s71                                    // 00000000E8B8: 92524752
	s_mul_i32 s61, s60, s61                                    // 00000000E8BC: 923D3D3C
	s_add_u32 s82, s82, s61                                    // 00000000E8C0: 80523D52
	v_mul_lo_u32 v6, v5, s82                                   // 00000000E8C4: D2850006 0000A505
	v_readlane_b32 s82, v3, 35                                 // 00000000E8CC: D2890052 00014703
	s_lshr_b32 s61, s82, 24                                    // 00000000E8D4: 8F3D9852
	s_and_b32 s82, s82, 0xffffff                               // 00000000E8D8: 8652FF52 00FFFFFF
	s_mul_i32 s82, s82, s71                                    // 00000000E8E0: 92524752
	s_mul_i32 s61, s60, s61                                    // 00000000E8E4: 923D3D3C
	s_add_u32 s82, s82, s61                                    // 00000000E8E8: 80523D52
	v_mul_lo_u32 v7, v4, s82                                   // 00000000E8EC: D2850007 0000A504
	v_add_u32_e32 v81, v6, v7                                  // 00000000E8F4: 68A20F06
	v_and_b32_e32 v4, 31, v0                                   // 00000000E8F8: 2608009F
	v_lshrrev_b32_e32 v4, 1, v4                                // 00000000E8FC: 20080881
	s_cmp_eq_u32 s88, 0                                        // 00000000E900: BF068058
	s_cselect_b32 s61, 2, 4                                    // 00000000E904: 853D8482
	v_mul_lo_u32 v4, v4, s61                                   // 00000000E908: D2850004 00007B04
	v_and_b32_e64 v5, v0, 1                                    // 00000000E910: D1130005 00010300
	v_add_u32_e32 v4, v4, v5                                   // 00000000E918: 68080B04
	v_lshlrev_b32_e32 v4, 2, v4                                // 00000000E91C: 24080882
	v_add_u32_e32 v64, v64, v4                                 // 00000000E920: 68800940
	v_add_u32_e32 v65, v65, v4                                 // 00000000E924: 68820941
	v_add_u32_e32 v66, v66, v4                                 // 00000000E928: 68840942
	v_add_u32_e32 v67, v67, v4                                 // 00000000E92C: 68860943
	v_add_u32_e32 v68, v68, v4                                 // 00000000E930: 68880944
	v_add_u32_e32 v69, v69, v4                                 // 00000000E934: 688A0945
	v_add_u32_e32 v70, v70, v4                                 // 00000000E938: 688C0946
	v_add_u32_e32 v71, v71, v4                                 // 00000000E93C: 688E0947
	v_add_u32_e32 v72, v72, v4                                 // 00000000E940: 68900948
	v_add_u32_e32 v73, v73, v4                                 // 00000000E944: 68920949
	v_add_u32_e32 v74, v74, v4                                 // 00000000E948: 6894094A
	v_add_u32_e32 v75, v75, v4                                 // 00000000E94C: 6896094B
	v_add_u32_e32 v76, v76, v4                                 // 00000000E950: 6898094C
	v_add_u32_e32 v77, v77, v4                                 // 00000000E954: 689A094D
	v_add_u32_e32 v78, v78, v4                                 // 00000000E958: 689C094E
	v_add_u32_e32 v79, v79, v4                                 // 00000000E95C: 689E094F
	v_add_u32_e32 v80, v80, v4                                 // 00000000E960: 68A00950
	v_add_u32_e32 v81, v81, v4                                 // 00000000E964: 68A20951
	s_waitcnt lgkmcnt(0)                                       // 00000000E968: BF8CC07F
	s_barrier                                                  // 00000000E96C: BF8A0000
	ds_read_b32 v84, v21                                       // 00000000E970: D86C0000 54000015
	ds_read_b32 v85, v21 offset:64                             // 00000000E978: D86C0040 55000015
	ds_read_b32 v86, v21 offset:2176                           // 00000000E980: D86C0880 56000015
	ds_read_b32 v87, v21 offset:2240                           // 00000000E988: D86C08C0 57000015
	ds_read_b32 v88, v21 offset:4352                           // 00000000E990: D86C1100 58000015
	ds_read_b32 v89, v21 offset:4416                           // 00000000E998: D86C1140 59000015
	ds_read_b32 v90, v21 offset:6528                           // 00000000E9A0: D86C1980 5A000015
	ds_read_b32 v91, v21 offset:6592                           // 00000000E9A8: D86C19C0 5B000015
	ds_read_b32 v92, v21 offset:8704                           // 00000000E9B0: D86C2200 5C000015
	ds_read_b32 v93, v21 offset:8768                           // 00000000E9B8: D86C2240 5D000015
	ds_read_b32 v94, v21 offset:10880                          // 00000000E9C0: D86C2A80 5E000015
	ds_read_b32 v95, v21 offset:10944                          // 00000000E9C8: D86C2AC0 5F000015
	ds_read_b32 v96, v21 offset:13056                          // 00000000E9D0: D86C3300 60000015
	ds_read_b32 v97, v21 offset:13120                          // 00000000E9D8: D86C3340 61000015
	ds_read_b32 v98, v21 offset:15232                          // 00000000E9E0: D86C3B80 62000015
	ds_read_b32 v99, v21 offset:15296                          // 00000000E9E8: D86C3BC0 63000015
	ds_read_b32 v100, v21 offset:17408                         // 00000000E9F0: D86C4400 64000015
	ds_read_b32 v101, v21 offset:17472                         // 00000000E9F8: D86C4440 65000015
	s_waitcnt lgkmcnt(0)                                       // 00000000EA00: BF8CC07F
	s_mov_b32 s36, -1                                          // 00000000EA04: BEA400C1
	s_mov_b32 s37, -1                                          // 00000000EA08: BEA500C1
	v_mov_b32_e32 v7, 0                                        // 00000000EA0C: 7E0E0280
	s_or_b32 s9, s9, 0x40000                                   // 00000000EA10: 8709FF09 00040000
	s_mov_b64 exec, s[36:37]                                   // 00000000EA18: BEFE0124
	v_mov_b32_e32 v6, v64                                      // 00000000EA1C: 7E0C0340
	s_mov_b64 s[60:61], 0                                      // 00000000EA20: BEBC0180
	v_readlane_b32 s82, v3, 0                                  // 00000000EA24: D2890052 00010103
	s_and_b32 s82, s82, 0xffffff                               // 00000000EA2C: 8652FF52 00FFFFFF
	s_cmp_lt_u32 s82, s66                                      // 00000000EA34: BF0A4252
	s_cselect_b32 s20, s36, s60                                // 00000000EA38: 85143C24
	v_readlane_b32 s82, v3, 1                                  // 00000000EA3C: D2890052 00010303
	s_and_b32 s82, s82, 0xffffff                               // 00000000EA44: 8652FF52 00FFFFFF
	s_cmp_lt_u32 s82, s66                                      // 00000000EA4C: BF0A4252
	s_cselect_b32 s21, s36, s60                                // 00000000EA50: 85153C24
	s_mov_b64 exec, s[20:21]                                   // 00000000EA54: BEFE0114
	buffer_store_dword v84, v6, s[8:11], 0 offen               // 00000000EA58: E0701000 80025406
	s_mov_b64 exec, s[36:37]                                   // 00000000EA60: BEFE0124
	v_mov_b32_e32 v6, v65                                      // 00000000EA64: 7E0C0341
	s_mov_b64 s[60:61], 0                                      // 00000000EA68: BEBC0180
	v_readlane_b32 s82, v3, 2                                  // 00000000EA6C: D2890052 00010503
	s_and_b32 s82, s82, 0xffffff                               // 00000000EA74: 8652FF52 00FFFFFF
	s_cmp_lt_u32 s82, s66                                      // 00000000EA7C: BF0A4252
	s_cselect_b32 s20, s36, s60                                // 00000000EA80: 85143C24
	v_readlane_b32 s82, v3, 3                                  // 00000000EA84: D2890052 00010703
	s_and_b32 s82, s82, 0xffffff                               // 00000000EA8C: 8652FF52 00FFFFFF
	s_cmp_lt_u32 s82, s66                                      // 00000000EA94: BF0A4252
	s_cselect_b32 s21, s36, s60                                // 00000000EA98: 85153C24
	s_mov_b64 exec, s[20:21]                                   // 00000000EA9C: BEFE0114
	buffer_store_dword v85, v6, s[8:11], 0 offen               // 00000000EAA0: E0701000 80025506
	s_mov_b64 exec, s[36:37]                                   // 00000000EAA8: BEFE0124
	v_mov_b32_e32 v6, v66                                      // 00000000EAAC: 7E0C0342
	s_mov_b64 s[60:61], 0                                      // 00000000EAB0: BEBC0180
	v_readlane_b32 s82, v3, 4                                  // 00000000EAB4: D2890052 00010903
	s_and_b32 s82, s82, 0xffffff                               // 00000000EABC: 8652FF52 00FFFFFF
	s_cmp_lt_u32 s82, s66                                      // 00000000EAC4: BF0A4252
	s_cselect_b32 s20, s36, s60                                // 00000000EAC8: 85143C24
	v_readlane_b32 s82, v3, 5                                  // 00000000EACC: D2890052 00010B03
	s_and_b32 s82, s82, 0xffffff                               // 00000000EAD4: 8652FF52 00FFFFFF
	s_cmp_lt_u32 s82, s66                                      // 00000000EADC: BF0A4252
	s_cselect_b32 s21, s36, s60                                // 00000000EAE0: 85153C24
	s_mov_b64 exec, s[20:21]                                   // 00000000EAE4: BEFE0114
	buffer_store_dword v86, v6, s[8:11], 0 offen               // 00000000EAE8: E0701000 80025606
	s_mov_b64 exec, s[36:37]                                   // 00000000EAF0: BEFE0124
	v_mov_b32_e32 v6, v67                                      // 00000000EAF4: 7E0C0343
	s_mov_b64 s[60:61], 0                                      // 00000000EAF8: BEBC0180
	v_readlane_b32 s82, v3, 6                                  // 00000000EAFC: D2890052 00010D03
	s_and_b32 s82, s82, 0xffffff                               // 00000000EB04: 8652FF52 00FFFFFF
	s_cmp_lt_u32 s82, s66                                      // 00000000EB0C: BF0A4252
	s_cselect_b32 s20, s36, s60                                // 00000000EB10: 85143C24
	v_readlane_b32 s82, v3, 7                                  // 00000000EB14: D2890052 00010F03
	s_and_b32 s82, s82, 0xffffff                               // 00000000EB1C: 8652FF52 00FFFFFF
	s_cmp_lt_u32 s82, s66                                      // 00000000EB24: BF0A4252
	s_cselect_b32 s21, s36, s60                                // 00000000EB28: 85153C24
	s_mov_b64 exec, s[20:21]                                   // 00000000EB2C: BEFE0114
	buffer_store_dword v87, v6, s[8:11], 0 offen               // 00000000EB30: E0701000 80025706
	s_mov_b64 exec, s[36:37]                                   // 00000000EB38: BEFE0124
	v_mov_b32_e32 v6, v68                                      // 00000000EB3C: 7E0C0344
	s_mov_b64 s[60:61], 0                                      // 00000000EB40: BEBC0180
	v_readlane_b32 s82, v3, 8                                  // 00000000EB44: D2890052 00011103
	s_and_b32 s82, s82, 0xffffff                               // 00000000EB4C: 8652FF52 00FFFFFF
	s_cmp_lt_u32 s82, s66                                      // 00000000EB54: BF0A4252
	s_cselect_b32 s20, s36, s60                                // 00000000EB58: 85143C24
	v_readlane_b32 s82, v3, 9                                  // 00000000EB5C: D2890052 00011303
	s_and_b32 s82, s82, 0xffffff                               // 00000000EB64: 8652FF52 00FFFFFF
	s_cmp_lt_u32 s82, s66                                      // 00000000EB6C: BF0A4252
	s_cselect_b32 s21, s36, s60                                // 00000000EB70: 85153C24
	s_mov_b64 exec, s[20:21]                                   // 00000000EB74: BEFE0114
	buffer_store_dword v88, v6, s[8:11], 0 offen               // 00000000EB78: E0701000 80025806
	s_mov_b64 exec, s[36:37]                                   // 00000000EB80: BEFE0124
	v_mov_b32_e32 v6, v69                                      // 00000000EB84: 7E0C0345
	s_mov_b64 s[60:61], 0                                      // 00000000EB88: BEBC0180
	v_readlane_b32 s82, v3, 10                                 // 00000000EB8C: D2890052 00011503
	s_and_b32 s82, s82, 0xffffff                               // 00000000EB94: 8652FF52 00FFFFFF
	s_cmp_lt_u32 s82, s66                                      // 00000000EB9C: BF0A4252
	s_cselect_b32 s20, s36, s60                                // 00000000EBA0: 85143C24
	v_readlane_b32 s82, v3, 11                                 // 00000000EBA4: D2890052 00011703
	s_and_b32 s82, s82, 0xffffff                               // 00000000EBAC: 8652FF52 00FFFFFF
	s_cmp_lt_u32 s82, s66                                      // 00000000EBB4: BF0A4252
	s_cselect_b32 s21, s36, s60                                // 00000000EBB8: 85153C24
	s_mov_b64 exec, s[20:21]                                   // 00000000EBBC: BEFE0114
	buffer_store_dword v89, v6, s[8:11], 0 offen               // 00000000EBC0: E0701000 80025906
	s_mov_b64 exec, s[36:37]                                   // 00000000EBC8: BEFE0124
	v_mov_b32_e32 v6, v70                                      // 00000000EBCC: 7E0C0346
	s_mov_b64 s[60:61], 0                                      // 00000000EBD0: BEBC0180
	v_readlane_b32 s82, v3, 12                                 // 00000000EBD4: D2890052 00011903
	s_and_b32 s82, s82, 0xffffff                               // 00000000EBDC: 8652FF52 00FFFFFF
	s_cmp_lt_u32 s82, s66                                      // 00000000EBE4: BF0A4252
	s_cselect_b32 s20, s36, s60                                // 00000000EBE8: 85143C24
	v_readlane_b32 s82, v3, 13                                 // 00000000EBEC: D2890052 00011B03
	s_and_b32 s82, s82, 0xffffff                               // 00000000EBF4: 8652FF52 00FFFFFF
	s_cmp_lt_u32 s82, s66                                      // 00000000EBFC: BF0A4252
	s_cselect_b32 s21, s36, s60                                // 00000000EC00: 85153C24
	s_mov_b64 exec, s[20:21]                                   // 00000000EC04: BEFE0114
	buffer_store_dword v90, v6, s[8:11], 0 offen               // 00000000EC08: E0701000 80025A06
	s_mov_b64 exec, s[36:37]                                   // 00000000EC10: BEFE0124
	v_mov_b32_e32 v6, v71                                      // 00000000EC14: 7E0C0347
	s_mov_b64 s[60:61], 0                                      // 00000000EC18: BEBC0180
	v_readlane_b32 s82, v3, 14                                 // 00000000EC1C: D2890052 00011D03
	s_and_b32 s82, s82, 0xffffff                               // 00000000EC24: 8652FF52 00FFFFFF
	s_cmp_lt_u32 s82, s66                                      // 00000000EC2C: BF0A4252
	s_cselect_b32 s20, s36, s60                                // 00000000EC30: 85143C24
	v_readlane_b32 s82, v3, 15                                 // 00000000EC34: D2890052 00011F03
	s_and_b32 s82, s82, 0xffffff                               // 00000000EC3C: 8652FF52 00FFFFFF
	s_cmp_lt_u32 s82, s66                                      // 00000000EC44: BF0A4252
	s_cselect_b32 s21, s36, s60                                // 00000000EC48: 85153C24
	s_mov_b64 exec, s[20:21]                                   // 00000000EC4C: BEFE0114
	buffer_store_dword v91, v6, s[8:11], 0 offen               // 00000000EC50: E0701000 80025B06
	s_mov_b64 exec, s[36:37]                                   // 00000000EC58: BEFE0124
	v_mov_b32_e32 v6, v72                                      // 00000000EC5C: 7E0C0348
	s_mov_b64 s[60:61], 0                                      // 00000000EC60: BEBC0180
	v_readlane_b32 s82, v3, 16                                 // 00000000EC64: D2890052 00012103
	s_and_b32 s82, s82, 0xffffff                               // 00000000EC6C: 8652FF52 00FFFFFF
	s_cmp_lt_u32 s82, s66                                      // 00000000EC74: BF0A4252
	s_cselect_b32 s20, s36, s60                                // 00000000EC78: 85143C24
	v_readlane_b32 s82, v3, 17                                 // 00000000EC7C: D2890052 00012303
	s_and_b32 s82, s82, 0xffffff                               // 00000000EC84: 8652FF52 00FFFFFF
	s_cmp_lt_u32 s82, s66                                      // 00000000EC8C: BF0A4252
	s_cselect_b32 s21, s36, s60                                // 00000000EC90: 85153C24
	s_mov_b64 exec, s[20:21]                                   // 00000000EC94: BEFE0114
	buffer_store_dword v92, v6, s[8:11], 0 offen               // 00000000EC98: E0701000 80025C06
	s_mov_b64 exec, s[36:37]                                   // 00000000ECA0: BEFE0124
	v_mov_b32_e32 v6, v73                                      // 00000000ECA4: 7E0C0349
	s_mov_b64 s[60:61], 0                                      // 00000000ECA8: BEBC0180
	v_readlane_b32 s82, v3, 18                                 // 00000000ECAC: D2890052 00012503
	s_and_b32 s82, s82, 0xffffff                               // 00000000ECB4: 8652FF52 00FFFFFF
	s_cmp_lt_u32 s82, s66                                      // 00000000ECBC: BF0A4252
	s_cselect_b32 s20, s36, s60                                // 00000000ECC0: 85143C24
	v_readlane_b32 s82, v3, 19                                 // 00000000ECC4: D2890052 00012703
	s_and_b32 s82, s82, 0xffffff                               // 00000000ECCC: 8652FF52 00FFFFFF
	s_cmp_lt_u32 s82, s66                                      // 00000000ECD4: BF0A4252
	s_cselect_b32 s21, s36, s60                                // 00000000ECD8: 85153C24
	s_mov_b64 exec, s[20:21]                                   // 00000000ECDC: BEFE0114
	buffer_store_dword v93, v6, s[8:11], 0 offen               // 00000000ECE0: E0701000 80025D06
	s_mov_b64 exec, s[36:37]                                   // 00000000ECE8: BEFE0124
	v_mov_b32_e32 v6, v74                                      // 00000000ECEC: 7E0C034A
	s_mov_b64 s[60:61], 0                                      // 00000000ECF0: BEBC0180
	v_readlane_b32 s82, v3, 20                                 // 00000000ECF4: D2890052 00012903
	s_and_b32 s82, s82, 0xffffff                               // 00000000ECFC: 8652FF52 00FFFFFF
	s_cmp_lt_u32 s82, s66                                      // 00000000ED04: BF0A4252
	s_cselect_b32 s20, s36, s60                                // 00000000ED08: 85143C24
	v_readlane_b32 s82, v3, 21                                 // 00000000ED0C: D2890052 00012B03
	s_and_b32 s82, s82, 0xffffff                               // 00000000ED14: 8652FF52 00FFFFFF
	s_cmp_lt_u32 s82, s66                                      // 00000000ED1C: BF0A4252
	s_cselect_b32 s21, s36, s60                                // 00000000ED20: 85153C24
	s_mov_b64 exec, s[20:21]                                   // 00000000ED24: BEFE0114
	buffer_store_dword v94, v6, s[8:11], 0 offen               // 00000000ED28: E0701000 80025E06
	s_mov_b64 exec, s[36:37]                                   // 00000000ED30: BEFE0124
	v_mov_b32_e32 v6, v75                                      // 00000000ED34: 7E0C034B
	s_mov_b64 s[60:61], 0                                      // 00000000ED38: BEBC0180
	v_readlane_b32 s82, v3, 22                                 // 00000000ED3C: D2890052 00012D03
	s_and_b32 s82, s82, 0xffffff                               // 00000000ED44: 8652FF52 00FFFFFF
	s_cmp_lt_u32 s82, s66                                      // 00000000ED4C: BF0A4252
	s_cselect_b32 s20, s36, s60                                // 00000000ED50: 85143C24
	v_readlane_b32 s82, v3, 23                                 // 00000000ED54: D2890052 00012F03
	s_and_b32 s82, s82, 0xffffff                               // 00000000ED5C: 8652FF52 00FFFFFF
	s_cmp_lt_u32 s82, s66                                      // 00000000ED64: BF0A4252
	s_cselect_b32 s21, s36, s60                                // 00000000ED68: 85153C24
	s_mov_b64 exec, s[20:21]                                   // 00000000ED6C: BEFE0114
	buffer_store_dword v95, v6, s[8:11], 0 offen               // 00000000ED70: E0701000 80025F06
	s_mov_b64 exec, s[36:37]                                   // 00000000ED78: BEFE0124
	v_mov_b32_e32 v6, v76                                      // 00000000ED7C: 7E0C034C
	s_mov_b64 s[60:61], 0                                      // 00000000ED80: BEBC0180
	v_readlane_b32 s82, v3, 24                                 // 00000000ED84: D2890052 00013103
	s_and_b32 s82, s82, 0xffffff                               // 00000000ED8C: 8652FF52 00FFFFFF
	s_cmp_lt_u32 s82, s66                                      // 00000000ED94: BF0A4252
	s_cselect_b32 s20, s36, s60                                // 00000000ED98: 85143C24
	v_readlane_b32 s82, v3, 25                                 // 00000000ED9C: D2890052 00013303
	s_and_b32 s82, s82, 0xffffff                               // 00000000EDA4: 8652FF52 00FFFFFF
	s_cmp_lt_u32 s82, s66                                      // 00000000EDAC: BF0A4252
	s_cselect_b32 s21, s36, s60                                // 00000000EDB0: 85153C24
	s_mov_b64 exec, s[20:21]                                   // 00000000EDB4: BEFE0114
	buffer_store_dword v96, v6, s[8:11], 0 offen               // 00000000EDB8: E0701000 80026006
	s_mov_b64 exec, s[36:37]                                   // 00000000EDC0: BEFE0124
	v_mov_b32_e32 v6, v77                                      // 00000000EDC4: 7E0C034D
	s_mov_b64 s[60:61], 0                                      // 00000000EDC8: BEBC0180
	v_readlane_b32 s82, v3, 26                                 // 00000000EDCC: D2890052 00013503
	s_and_b32 s82, s82, 0xffffff                               // 00000000EDD4: 8652FF52 00FFFFFF
	s_cmp_lt_u32 s82, s66                                      // 00000000EDDC: BF0A4252
	s_cselect_b32 s20, s36, s60                                // 00000000EDE0: 85143C24
	v_readlane_b32 s82, v3, 27                                 // 00000000EDE4: D2890052 00013703
	s_and_b32 s82, s82, 0xffffff                               // 00000000EDEC: 8652FF52 00FFFFFF
	s_cmp_lt_u32 s82, s66                                      // 00000000EDF4: BF0A4252
	s_cselect_b32 s21, s36, s60                                // 00000000EDF8: 85153C24
	s_mov_b64 exec, s[20:21]                                   // 00000000EDFC: BEFE0114
	buffer_store_dword v97, v6, s[8:11], 0 offen               // 00000000EE00: E0701000 80026106
	s_mov_b64 exec, s[36:37]                                   // 00000000EE08: BEFE0124
	v_mov_b32_e32 v6, v78                                      // 00000000EE0C: 7E0C034E
	s_mov_b64 s[60:61], 0                                      // 00000000EE10: BEBC0180
	v_readlane_b32 s82, v3, 28                                 // 00000000EE14: D2890052 00013903
	s_and_b32 s82, s82, 0xffffff                               // 00000000EE1C: 8652FF52 00FFFFFF
	s_cmp_lt_u32 s82, s66                                      // 00000000EE24: BF0A4252
	s_cselect_b32 s20, s36, s60                                // 00000000EE28: 85143C24
	v_readlane_b32 s82, v3, 29                                 // 00000000EE2C: D2890052 00013B03
	s_and_b32 s82, s82, 0xffffff                               // 00000000EE34: 8652FF52 00FFFFFF
	s_cmp_lt_u32 s82, s66                                      // 00000000EE3C: BF0A4252
	s_cselect_b32 s21, s36, s60                                // 00000000EE40: 85153C24
	s_mov_b64 exec, s[20:21]                                   // 00000000EE44: BEFE0114
	buffer_store_dword v98, v6, s[8:11], 0 offen               // 00000000EE48: E0701000 80026206
	s_mov_b64 exec, s[36:37]                                   // 00000000EE50: BEFE0124
	v_mov_b32_e32 v6, v79                                      // 00000000EE54: 7E0C034F
	s_mov_b64 s[60:61], 0                                      // 00000000EE58: BEBC0180
	v_readlane_b32 s82, v3, 30                                 // 00000000EE5C: D2890052 00013D03
	s_and_b32 s82, s82, 0xffffff                               // 00000000EE64: 8652FF52 00FFFFFF
	s_cmp_lt_u32 s82, s66                                      // 00000000EE6C: BF0A4252
	s_cselect_b32 s20, s36, s60                                // 00000000EE70: 85143C24
	v_readlane_b32 s82, v3, 31                                 // 00000000EE74: D2890052 00013F03
	s_and_b32 s82, s82, 0xffffff                               // 00000000EE7C: 8652FF52 00FFFFFF
	s_cmp_lt_u32 s82, s66                                      // 00000000EE84: BF0A4252
	s_cselect_b32 s21, s36, s60                                // 00000000EE88: 85153C24
	s_mov_b64 exec, s[20:21]                                   // 00000000EE8C: BEFE0114
	buffer_store_dword v99, v6, s[8:11], 0 offen               // 00000000EE90: E0701000 80026306
	s_mov_b64 exec, s[36:37]                                   // 00000000EE98: BEFE0124
	v_mov_b32_e32 v6, v80                                      // 00000000EE9C: 7E0C0350
	s_mov_b64 s[60:61], 0                                      // 00000000EEA0: BEBC0180
	v_readlane_b32 s82, v3, 32                                 // 00000000EEA4: D2890052 00014103
	s_and_b32 s82, s82, 0xffffff                               // 00000000EEAC: 8652FF52 00FFFFFF
	s_cmp_lt_u32 s82, s66                                      // 00000000EEB4: BF0A4252
	s_cselect_b32 s20, s36, s60                                // 00000000EEB8: 85143C24
	v_readlane_b32 s82, v3, 33                                 // 00000000EEBC: D2890052 00014303
	s_and_b32 s82, s82, 0xffffff                               // 00000000EEC4: 8652FF52 00FFFFFF
	s_cmp_lt_u32 s82, s66                                      // 00000000EECC: BF0A4252
	s_cselect_b32 s21, s36, s60                                // 00000000EED0: 85153C24
	s_mov_b64 exec, s[20:21]                                   // 00000000EED4: BEFE0114
	buffer_store_dword v100, v6, s[8:11], 0 offen              // 00000000EED8: E0701000 80026406
	s_mov_b64 exec, s[36:37]                                   // 00000000EEE0: BEFE0124
	v_mov_b32_e32 v6, v81                                      // 00000000EEE4: 7E0C0351
	s_mov_b64 s[60:61], 0                                      // 00000000EEE8: BEBC0180
	v_readlane_b32 s82, v3, 34                                 // 00000000EEEC: D2890052 00014503
	s_and_b32 s82, s82, 0xffffff                               // 00000000EEF4: 8652FF52 00FFFFFF
	s_cmp_lt_u32 s82, s66                                      // 00000000EEFC: BF0A4252
	s_cselect_b32 s20, s36, s60                                // 00000000EF00: 85143C24
	v_readlane_b32 s82, v3, 35                                 // 00000000EF04: D2890052 00014703
	s_and_b32 s82, s82, 0xffffff                               // 00000000EF0C: 8652FF52 00FFFFFF
	s_cmp_lt_u32 s82, s66                                      // 00000000EF14: BF0A4252
	s_cselect_b32 s21, s36, s60                                // 00000000EF18: 85153C24
	s_mov_b64 exec, s[20:21]                                   // 00000000EF1C: BEFE0114
	buffer_store_dword v101, v6, s[8:11], 0 offen              // 00000000EF20: E0701000 80026506
	s_mov_b64 exec, s[36:37]                                   // 00000000EF28: BEFE0124
	s_cmp_eq_u32 s7, 0                                         // 00000000EF2C: BF068007
	s_cbranch_scc0 label_3AC8                                  // 00000000EF30: BF840978
	s_waitcnt vmcnt(18)                                        // 00000000EF34: BF8C4F72
	s_mov_b32 s8, s90                                          // 00000000EF38: BE88005A
	s_mov_b32 s9, s91                                          // 00000000EF3C: BE89005B
	s_mul_i32 s60, s66, s71                                    // 00000000EF40: 923C4742
	s_add_u32 s8, s60, s8                                      // 00000000EF44: 8008083C
	s_addc_u32 s9, 0, s9                                       // 00000000EF48: 82090980
	s_lshr_b32 s71, s71, 5                                     // 00000000EF4C: 8F478547
	s_mul_i32 s60, s66, s71                                    // 00000000EF50: 923C4742
	s_mov_b32 s10, s60                                         // 00000000EF54: BE8A003C
	s_lshr_b32 s61, s65, 5                                     // 00000000EF58: 8F3D8541
	s_mul_i32 s60, s2, 4                                       // 00000000EF5C: 923C8402
	v_lshrrev_b32_e32 v4, 24, v28                              // 00000000EF60: 20083898
	v_mul_lo_u32 v4, s61, v4                                   // 00000000EF64: D2850004 0002083D
	v_and_b32_e32 v28, 0xffffff, v28                           // 00000000EF6C: 263838FF 00FFFFFF
	v_mul_lo_u32 v28, s71, v28                                 // 00000000EF74: D285001C 00023847
	v_add_u32_e32 v28, v4, v28                                 // 00000000EF7C: 68383904
	v_add_u32_e32 v28, s60, v28                                // 00000000EF80: 6838383C
	v_lshrrev_b32_e32 v4, 24, v29                              // 00000000EF84: 20083A98
	v_mul_lo_u32 v4, s61, v4                                   // 00000000EF88: D2850004 0002083D
	v_and_b32_e32 v29, 0xffffff, v29                           // 00000000EF90: 263A3AFF 00FFFFFF
	v_mul_lo_u32 v29, s71, v29                                 // 00000000EF98: D285001D 00023A47
	v_add_u32_e32 v29, v4, v29                                 // 00000000EFA0: 683A3B04
	v_add_u32_e32 v29, s60, v29                                // 00000000EFA4: 683A3A3C
	v_lshrrev_b32_e32 v4, 24, v30                              // 00000000EFA8: 20083C98
	v_mul_lo_u32 v4, s61, v4                                   // 00000000EFAC: D2850004 0002083D
	v_and_b32_e32 v30, 0xffffff, v30                           // 00000000EFB4: 263C3CFF 00FFFFFF
	v_mul_lo_u32 v30, s71, v30                                 // 00000000EFBC: D285001E 00023C47
	v_add_u32_e32 v30, v4, v30                                 // 00000000EFC4: 683C3D04
	v_add_u32_e32 v30, s60, v30                                // 00000000EFC8: 683C3C3C
	v_lshrrev_b32_e32 v4, 24, v31                              // 00000000EFCC: 20083E98
	v_mul_lo_u32 v4, s61, v4                                   // 00000000EFD0: D2850004 0002083D
	v_and_b32_e32 v31, 0xffffff, v31                           // 00000000EFD8: 263E3EFF 00FFFFFF
	v_mul_lo_u32 v31, s71, v31                                 // 00000000EFE0: D285001F 00023E47
	v_add_u32_e32 v31, v4, v31                                 // 00000000EFE8: 683E3F04
	v_add_u32_e32 v31, s60, v31                                // 00000000EFEC: 683E3E3C
	v_lshrrev_b32_e32 v4, 24, v32                              // 00000000EFF0: 20084098
	v_mul_lo_u32 v4, s61, v4                                   // 00000000EFF4: D2850004 0002083D
	v_and_b32_e32 v32, 0xffffff, v32                           // 00000000EFFC: 264040FF 00FFFFFF
	v_mul_lo_u32 v32, s71, v32                                 // 00000000F004: D2850020 00024047
	v_add_u32_e32 v32, v4, v32                                 // 00000000F00C: 68404104
	v_add_u32_e32 v32, s60, v32                                // 00000000F010: 6840403C
	v_lshrrev_b32_e32 v4, 24, v33                              // 00000000F014: 20084298
	v_mul_lo_u32 v4, s61, v4                                   // 00000000F018: D2850004 0002083D
	v_and_b32_e32 v33, 0xffffff, v33                           // 00000000F020: 264242FF 00FFFFFF
	v_mul_lo_u32 v33, s71, v33                                 // 00000000F028: D2850021 00024247
	v_add_u32_e32 v33, v4, v33                                 // 00000000F030: 68424304
	v_add_u32_e32 v33, s60, v33                                // 00000000F034: 6842423C
	v_lshrrev_b32_e32 v4, 24, v34                              // 00000000F038: 20084498
	v_mul_lo_u32 v4, s61, v4                                   // 00000000F03C: D2850004 0002083D
	v_and_b32_e32 v34, 0xffffff, v34                           // 00000000F044: 264444FF 00FFFFFF
	v_mul_lo_u32 v34, s71, v34                                 // 00000000F04C: D2850022 00024447
	v_add_u32_e32 v34, v4, v34                                 // 00000000F054: 68444504
	v_add_u32_e32 v34, s60, v34                                // 00000000F058: 6844443C
	v_lshrrev_b32_e32 v4, 24, v35                              // 00000000F05C: 20084698
	v_mul_lo_u32 v4, s61, v4                                   // 00000000F060: D2850004 0002083D
	v_and_b32_e32 v35, 0xffffff, v35                           // 00000000F068: 264646FF 00FFFFFF
	v_mul_lo_u32 v35, s71, v35                                 // 00000000F070: D2850023 00024647
	v_add_u32_e32 v35, v4, v35                                 // 00000000F078: 68464704
	v_add_u32_e32 v35, s60, v35                                // 00000000F07C: 6846463C
	v_lshrrev_b32_e32 v4, 24, v36                              // 00000000F080: 20084898
	v_mul_lo_u32 v4, s61, v4                                   // 00000000F084: D2850004 0002083D
	v_and_b32_e32 v36, 0xffffff, v36                           // 00000000F08C: 264848FF 00FFFFFF
	v_mul_lo_u32 v36, s71, v36                                 // 00000000F094: D2850024 00024847
	v_add_u32_e32 v36, v4, v36                                 // 00000000F09C: 68484904
	v_add_u32_e32 v36, s60, v36                                // 00000000F0A0: 6848483C
	s_mov_b64 exec, 0xffff                                     // 00000000F0A4: BEFE01FF 0000FFFF
	buffer_store_dword v156, v28, s[8:11], 0 offen             // 00000000F0AC: E0701000 80029C1C
	buffer_store_dword v157, v29, s[8:11], 0 offen             // 00000000F0B4: E0701000 80029D1D
	buffer_store_dword v158, v30, s[8:11], 0 offen             // 00000000F0BC: E0701000 80029E1E
	buffer_store_dword v159, v31, s[8:11], 0 offen             // 00000000F0C4: E0701000 80029F1F
	buffer_store_dword v160, v32, s[8:11], 0 offen             // 00000000F0CC: E0701000 8002A020
	buffer_store_dword v161, v33, s[8:11], 0 offen             // 00000000F0D4: E0701000 8002A121
	buffer_store_dword v162, v34, s[8:11], 0 offen             // 00000000F0DC: E0701000 8002A222
	buffer_store_dword v163, v35, s[8:11], 0 offen             // 00000000F0E4: E0701000 8002A323
	buffer_store_dword v164, v36, s[8:11], 0 offen             // 00000000F0EC: E0701000 8002A424
	s_mov_b64 exec, s[36:37]                                   // 00000000F0F4: BEFE0124
	s_branch label_3AC8                                        // 00000000F0F8: BF820906

000000000000f0fc <label_31C2>:
	ds_write_b64 v20, v[84:85]                                 // 00000000F0FC: D89A0000 00005414
	ds_write_b64 v20, v[88:89] offset:4352                     // 00000000F104: D89A1100 00005814
	ds_write_b64 v20, v[92:93] offset:8704                     // 00000000F10C: D89A2200 00005C14
	ds_write_b64 v20, v[96:97] offset:13056                    // 00000000F114: D89A3300 00006014
	ds_write_b64 v20, v[100:101] offset:17408                  // 00000000F11C: D89A4400 00006414
	ds_write_b64 v20, v[104:105] offset:21760                  // 00000000F124: D89A5500 00006814
	ds_write_b64 v20, v[108:109] offset:26112                  // 00000000F12C: D89A6600 00006C14
	ds_write_b64 v20, v[112:113] offset:30464                  // 00000000F134: D89A7700 00007014
	ds_write_b64 v20, v[116:117] offset:34816                  // 00000000F13C: D89A8800 00007414
	ds_write_b64 v20, v[120:121] offset:2176                   // 00000000F144: D89A0880 00007814
	ds_write_b64 v20, v[124:125] offset:6528                   // 00000000F14C: D89A1980 00007C14
	ds_write_b64 v20, v[128:129] offset:10880                  // 00000000F154: D89A2A80 00008014
	ds_write_b64 v20, v[132:133] offset:15232                  // 00000000F15C: D89A3B80 00008414
	ds_write_b64 v20, v[136:137] offset:19584                  // 00000000F164: D89A4C80 00008814
	ds_write_b64 v20, v[140:141] offset:23936                  // 00000000F16C: D89A5D80 00008C14
	ds_write_b64 v20, v[144:145] offset:28288                  // 00000000F174: D89A6E80 00009014
	ds_write_b64 v20, v[148:149] offset:32640                  // 00000000F17C: D89A7F80 00009414
	ds_write_b64 v20, v[152:153] offset:36992                  // 00000000F184: D89A9080 00009814
	v_lshrrev_b32_e32 v4, 5, v0                                // 00000000F18C: 20080085
	v_xor_b32_e32 v5, 1, v4                                    // 00000000F190: 2A0A0881
	s_mul_i32 s60, s65, 1                                      // 00000000F194: 923C8141
	s_cmp_eq_u32 s88, 0                                        // 00000000F198: BF068058
	s_cselect_b32 s61, 1, 8                                    // 00000000F19C: 853D8881
	s_mul_i32 s60, s61, s60                                    // 00000000F1A0: 923C3C3D
	v_readlane_b32 s82, v3, 0                                  // 00000000F1A4: D2890052 00010103
	s_lshr_b32 s61, s82, 24                                    // 00000000F1AC: 8F3D9852
	s_and_b32 s82, s82, 0xffffff                               // 00000000F1B0: 8652FF52 00FFFFFF
	s_mul_i32 s82, s82, s71                                    // 00000000F1B8: 92524752
	s_mul_i32 s61, s60, s61                                    // 00000000F1BC: 923D3D3C
	s_add_u32 s82, s82, s61                                    // 00000000F1C0: 80523D52
	v_mul_lo_u32 v6, v5, s82                                   // 00000000F1C4: D2850006 0000A505
	v_readlane_b32 s82, v3, 1                                  // 00000000F1CC: D2890052 00010303
	s_lshr_b32 s61, s82, 24                                    // 00000000F1D4: 8F3D9852
	s_and_b32 s82, s82, 0xffffff                               // 00000000F1D8: 8652FF52 00FFFFFF
	s_mul_i32 s82, s82, s71                                    // 00000000F1E0: 92524752
	s_mul_i32 s61, s60, s61                                    // 00000000F1E4: 923D3D3C
	s_add_u32 s82, s82, s61                                    // 00000000F1E8: 80523D52
	v_mul_lo_u32 v7, v4, s82                                   // 00000000F1EC: D2850007 0000A504
	v_add_u32_e32 v64, v6, v7                                  // 00000000F1F4: 68800F06
	v_readlane_b32 s82, v3, 2                                  // 00000000F1F8: D2890052 00010503
	s_lshr_b32 s61, s82, 24                                    // 00000000F200: 8F3D9852
	s_and_b32 s82, s82, 0xffffff                               // 00000000F204: 8652FF52 00FFFFFF
	s_mul_i32 s82, s82, s71                                    // 00000000F20C: 92524752
	s_mul_i32 s61, s60, s61                                    // 00000000F210: 923D3D3C
	s_add_u32 s82, s82, s61                                    // 00000000F214: 80523D52
	v_mul_lo_u32 v6, v5, s82                                   // 00000000F218: D2850006 0000A505
	v_readlane_b32 s82, v3, 3                                  // 00000000F220: D2890052 00010703
	s_lshr_b32 s61, s82, 24                                    // 00000000F228: 8F3D9852
	s_and_b32 s82, s82, 0xffffff                               // 00000000F22C: 8652FF52 00FFFFFF
	s_mul_i32 s82, s82, s71                                    // 00000000F234: 92524752
	s_mul_i32 s61, s60, s61                                    // 00000000F238: 923D3D3C
	s_add_u32 s82, s82, s61                                    // 00000000F23C: 80523D52
	v_mul_lo_u32 v7, v4, s82                                   // 00000000F240: D2850007 0000A504
	v_add_u32_e32 v65, v6, v7                                  // 00000000F248: 68820F06
	v_readlane_b32 s82, v3, 4                                  // 00000000F24C: D2890052 00010903
	s_lshr_b32 s61, s82, 24                                    // 00000000F254: 8F3D9852
	s_and_b32 s82, s82, 0xffffff                               // 00000000F258: 8652FF52 00FFFFFF
	s_mul_i32 s82, s82, s71                                    // 00000000F260: 92524752
	s_mul_i32 s61, s60, s61                                    // 00000000F264: 923D3D3C
	s_add_u32 s82, s82, s61                                    // 00000000F268: 80523D52
	v_mul_lo_u32 v6, v5, s82                                   // 00000000F26C: D2850006 0000A505
	v_readlane_b32 s82, v3, 5                                  // 00000000F274: D2890052 00010B03
	s_lshr_b32 s61, s82, 24                                    // 00000000F27C: 8F3D9852
	s_and_b32 s82, s82, 0xffffff                               // 00000000F280: 8652FF52 00FFFFFF
	s_mul_i32 s82, s82, s71                                    // 00000000F288: 92524752
	s_mul_i32 s61, s60, s61                                    // 00000000F28C: 923D3D3C
	s_add_u32 s82, s82, s61                                    // 00000000F290: 80523D52
	v_mul_lo_u32 v7, v4, s82                                   // 00000000F294: D2850007 0000A504
	v_add_u32_e32 v66, v6, v7                                  // 00000000F29C: 68840F06
	v_readlane_b32 s82, v3, 6                                  // 00000000F2A0: D2890052 00010D03
	s_lshr_b32 s61, s82, 24                                    // 00000000F2A8: 8F3D9852
	s_and_b32 s82, s82, 0xffffff                               // 00000000F2AC: 8652FF52 00FFFFFF
	s_mul_i32 s82, s82, s71                                    // 00000000F2B4: 92524752
	s_mul_i32 s61, s60, s61                                    // 00000000F2B8: 923D3D3C
	s_add_u32 s82, s82, s61                                    // 00000000F2BC: 80523D52
	v_mul_lo_u32 v6, v5, s82                                   // 00000000F2C0: D2850006 0000A505
	v_readlane_b32 s82, v3, 7                                  // 00000000F2C8: D2890052 00010F03
	s_lshr_b32 s61, s82, 24                                    // 00000000F2D0: 8F3D9852
	s_and_b32 s82, s82, 0xffffff                               // 00000000F2D4: 8652FF52 00FFFFFF
	s_mul_i32 s82, s82, s71                                    // 00000000F2DC: 92524752
	s_mul_i32 s61, s60, s61                                    // 00000000F2E0: 923D3D3C
	s_add_u32 s82, s82, s61                                    // 00000000F2E4: 80523D52
	v_mul_lo_u32 v7, v4, s82                                   // 00000000F2E8: D2850007 0000A504
	v_add_u32_e32 v67, v6, v7                                  // 00000000F2F0: 68860F06
	v_readlane_b32 s82, v3, 8                                  // 00000000F2F4: D2890052 00011103
	s_lshr_b32 s61, s82, 24                                    // 00000000F2FC: 8F3D9852
	s_and_b32 s82, s82, 0xffffff                               // 00000000F300: 8652FF52 00FFFFFF
	s_mul_i32 s82, s82, s71                                    // 00000000F308: 92524752
	s_mul_i32 s61, s60, s61                                    // 00000000F30C: 923D3D3C
	s_add_u32 s82, s82, s61                                    // 00000000F310: 80523D52
	v_mul_lo_u32 v6, v5, s82                                   // 00000000F314: D2850006 0000A505
	v_readlane_b32 s82, v3, 9                                  // 00000000F31C: D2890052 00011303
	s_lshr_b32 s61, s82, 24                                    // 00000000F324: 8F3D9852
	s_and_b32 s82, s82, 0xffffff                               // 00000000F328: 8652FF52 00FFFFFF
	s_mul_i32 s82, s82, s71                                    // 00000000F330: 92524752
	s_mul_i32 s61, s60, s61                                    // 00000000F334: 923D3D3C
	s_add_u32 s82, s82, s61                                    // 00000000F338: 80523D52
	v_mul_lo_u32 v7, v4, s82                                   // 00000000F33C: D2850007 0000A504
	v_add_u32_e32 v68, v6, v7                                  // 00000000F344: 68880F06
	v_readlane_b32 s82, v3, 10                                 // 00000000F348: D2890052 00011503
	s_lshr_b32 s61, s82, 24                                    // 00000000F350: 8F3D9852
	s_and_b32 s82, s82, 0xffffff                               // 00000000F354: 8652FF52 00FFFFFF
	s_mul_i32 s82, s82, s71                                    // 00000000F35C: 92524752
	s_mul_i32 s61, s60, s61                                    // 00000000F360: 923D3D3C
	s_add_u32 s82, s82, s61                                    // 00000000F364: 80523D52
	v_mul_lo_u32 v6, v5, s82                                   // 00000000F368: D2850006 0000A505
	v_readlane_b32 s82, v3, 11                                 // 00000000F370: D2890052 00011703
	s_lshr_b32 s61, s82, 24                                    // 00000000F378: 8F3D9852
	s_and_b32 s82, s82, 0xffffff                               // 00000000F37C: 8652FF52 00FFFFFF
	s_mul_i32 s82, s82, s71                                    // 00000000F384: 92524752
	s_mul_i32 s61, s60, s61                                    // 00000000F388: 923D3D3C
	s_add_u32 s82, s82, s61                                    // 00000000F38C: 80523D52
	v_mul_lo_u32 v7, v4, s82                                   // 00000000F390: D2850007 0000A504
	v_add_u32_e32 v69, v6, v7                                  // 00000000F398: 688A0F06
	v_readlane_b32 s82, v3, 12                                 // 00000000F39C: D2890052 00011903
	s_lshr_b32 s61, s82, 24                                    // 00000000F3A4: 8F3D9852
	s_and_b32 s82, s82, 0xffffff                               // 00000000F3A8: 8652FF52 00FFFFFF
	s_mul_i32 s82, s82, s71                                    // 00000000F3B0: 92524752
	s_mul_i32 s61, s60, s61                                    // 00000000F3B4: 923D3D3C
	s_add_u32 s82, s82, s61                                    // 00000000F3B8: 80523D52
	v_mul_lo_u32 v6, v5, s82                                   // 00000000F3BC: D2850006 0000A505
	v_readlane_b32 s82, v3, 13                                 // 00000000F3C4: D2890052 00011B03
	s_lshr_b32 s61, s82, 24                                    // 00000000F3CC: 8F3D9852
	s_and_b32 s82, s82, 0xffffff                               // 00000000F3D0: 8652FF52 00FFFFFF
	s_mul_i32 s82, s82, s71                                    // 00000000F3D8: 92524752
	s_mul_i32 s61, s60, s61                                    // 00000000F3DC: 923D3D3C
	s_add_u32 s82, s82, s61                                    // 00000000F3E0: 80523D52
	v_mul_lo_u32 v7, v4, s82                                   // 00000000F3E4: D2850007 0000A504
	v_add_u32_e32 v70, v6, v7                                  // 00000000F3EC: 688C0F06
	v_readlane_b32 s82, v3, 14                                 // 00000000F3F0: D2890052 00011D03
	s_lshr_b32 s61, s82, 24                                    // 00000000F3F8: 8F3D9852
	s_and_b32 s82, s82, 0xffffff                               // 00000000F3FC: 8652FF52 00FFFFFF
	s_mul_i32 s82, s82, s71                                    // 00000000F404: 92524752
	s_mul_i32 s61, s60, s61                                    // 00000000F408: 923D3D3C
	s_add_u32 s82, s82, s61                                    // 00000000F40C: 80523D52
	v_mul_lo_u32 v6, v5, s82                                   // 00000000F410: D2850006 0000A505
	v_readlane_b32 s82, v3, 15                                 // 00000000F418: D2890052 00011F03
	s_lshr_b32 s61, s82, 24                                    // 00000000F420: 8F3D9852
	s_and_b32 s82, s82, 0xffffff                               // 00000000F424: 8652FF52 00FFFFFF
	s_mul_i32 s82, s82, s71                                    // 00000000F42C: 92524752
	s_mul_i32 s61, s60, s61                                    // 00000000F430: 923D3D3C
	s_add_u32 s82, s82, s61                                    // 00000000F434: 80523D52
	v_mul_lo_u32 v7, v4, s82                                   // 00000000F438: D2850007 0000A504
	v_add_u32_e32 v71, v6, v7                                  // 00000000F440: 688E0F06
	v_readlane_b32 s82, v3, 16                                 // 00000000F444: D2890052 00012103
	s_lshr_b32 s61, s82, 24                                    // 00000000F44C: 8F3D9852
	s_and_b32 s82, s82, 0xffffff                               // 00000000F450: 8652FF52 00FFFFFF
	s_mul_i32 s82, s82, s71                                    // 00000000F458: 92524752
	s_mul_i32 s61, s60, s61                                    // 00000000F45C: 923D3D3C
	s_add_u32 s82, s82, s61                                    // 00000000F460: 80523D52
	v_mul_lo_u32 v6, v5, s82                                   // 00000000F464: D2850006 0000A505
	v_readlane_b32 s82, v3, 17                                 // 00000000F46C: D2890052 00012303
	s_lshr_b32 s61, s82, 24                                    // 00000000F474: 8F3D9852
	s_and_b32 s82, s82, 0xffffff                               // 00000000F478: 8652FF52 00FFFFFF
	s_mul_i32 s82, s82, s71                                    // 00000000F480: 92524752
	s_mul_i32 s61, s60, s61                                    // 00000000F484: 923D3D3C
	s_add_u32 s82, s82, s61                                    // 00000000F488: 80523D52
	v_mul_lo_u32 v7, v4, s82                                   // 00000000F48C: D2850007 0000A504
	v_add_u32_e32 v72, v6, v7                                  // 00000000F494: 68900F06
	v_readlane_b32 s82, v3, 18                                 // 00000000F498: D2890052 00012503
	s_lshr_b32 s61, s82, 24                                    // 00000000F4A0: 8F3D9852
	s_and_b32 s82, s82, 0xffffff                               // 00000000F4A4: 8652FF52 00FFFFFF
	s_mul_i32 s82, s82, s71                                    // 00000000F4AC: 92524752
	s_mul_i32 s61, s60, s61                                    // 00000000F4B0: 923D3D3C
	s_add_u32 s82, s82, s61                                    // 00000000F4B4: 80523D52
	v_mul_lo_u32 v6, v5, s82                                   // 00000000F4B8: D2850006 0000A505
	v_readlane_b32 s82, v3, 19                                 // 00000000F4C0: D2890052 00012703
	s_lshr_b32 s61, s82, 24                                    // 00000000F4C8: 8F3D9852
	s_and_b32 s82, s82, 0xffffff                               // 00000000F4CC: 8652FF52 00FFFFFF
	s_mul_i32 s82, s82, s71                                    // 00000000F4D4: 92524752
	s_mul_i32 s61, s60, s61                                    // 00000000F4D8: 923D3D3C
	s_add_u32 s82, s82, s61                                    // 00000000F4DC: 80523D52
	v_mul_lo_u32 v7, v4, s82                                   // 00000000F4E0: D2850007 0000A504
	v_add_u32_e32 v73, v6, v7                                  // 00000000F4E8: 68920F06
	v_readlane_b32 s82, v3, 20                                 // 00000000F4EC: D2890052 00012903
	s_lshr_b32 s61, s82, 24                                    // 00000000F4F4: 8F3D9852
	s_and_b32 s82, s82, 0xffffff                               // 00000000F4F8: 8652FF52 00FFFFFF
	s_mul_i32 s82, s82, s71                                    // 00000000F500: 92524752
	s_mul_i32 s61, s60, s61                                    // 00000000F504: 923D3D3C
	s_add_u32 s82, s82, s61                                    // 00000000F508: 80523D52
	v_mul_lo_u32 v6, v5, s82                                   // 00000000F50C: D2850006 0000A505
	v_readlane_b32 s82, v3, 21                                 // 00000000F514: D2890052 00012B03
	s_lshr_b32 s61, s82, 24                                    // 00000000F51C: 8F3D9852
	s_and_b32 s82, s82, 0xffffff                               // 00000000F520: 8652FF52 00FFFFFF
	s_mul_i32 s82, s82, s71                                    // 00000000F528: 92524752
	s_mul_i32 s61, s60, s61                                    // 00000000F52C: 923D3D3C
	s_add_u32 s82, s82, s61                                    // 00000000F530: 80523D52
	v_mul_lo_u32 v7, v4, s82                                   // 00000000F534: D2850007 0000A504
	v_add_u32_e32 v74, v6, v7                                  // 00000000F53C: 68940F06
	v_readlane_b32 s82, v3, 22                                 // 00000000F540: D2890052 00012D03
	s_lshr_b32 s61, s82, 24                                    // 00000000F548: 8F3D9852
	s_and_b32 s82, s82, 0xffffff                               // 00000000F54C: 8652FF52 00FFFFFF
	s_mul_i32 s82, s82, s71                                    // 00000000F554: 92524752
	s_mul_i32 s61, s60, s61                                    // 00000000F558: 923D3D3C
	s_add_u32 s82, s82, s61                                    // 00000000F55C: 80523D52
	v_mul_lo_u32 v6, v5, s82                                   // 00000000F560: D2850006 0000A505
	v_readlane_b32 s82, v3, 23                                 // 00000000F568: D2890052 00012F03
	s_lshr_b32 s61, s82, 24                                    // 00000000F570: 8F3D9852
	s_and_b32 s82, s82, 0xffffff                               // 00000000F574: 8652FF52 00FFFFFF
	s_mul_i32 s82, s82, s71                                    // 00000000F57C: 92524752
	s_mul_i32 s61, s60, s61                                    // 00000000F580: 923D3D3C
	s_add_u32 s82, s82, s61                                    // 00000000F584: 80523D52
	v_mul_lo_u32 v7, v4, s82                                   // 00000000F588: D2850007 0000A504
	v_add_u32_e32 v75, v6, v7                                  // 00000000F590: 68960F06
	v_readlane_b32 s82, v3, 24                                 // 00000000F594: D2890052 00013103
	s_lshr_b32 s61, s82, 24                                    // 00000000F59C: 8F3D9852
	s_and_b32 s82, s82, 0xffffff                               // 00000000F5A0: 8652FF52 00FFFFFF
	s_mul_i32 s82, s82, s71                                    // 00000000F5A8: 92524752
	s_mul_i32 s61, s60, s61                                    // 00000000F5AC: 923D3D3C
	s_add_u32 s82, s82, s61                                    // 00000000F5B0: 80523D52
	v_mul_lo_u32 v6, v5, s82                                   // 00000000F5B4: D2850006 0000A505
	v_readlane_b32 s82, v3, 25                                 // 00000000F5BC: D2890052 00013303
	s_lshr_b32 s61, s82, 24                                    // 00000000F5C4: 8F3D9852
	s_and_b32 s82, s82, 0xffffff                               // 00000000F5C8: 8652FF52 00FFFFFF
	s_mul_i32 s82, s82, s71                                    // 00000000F5D0: 92524752
	s_mul_i32 s61, s60, s61                                    // 00000000F5D4: 923D3D3C
	s_add_u32 s82, s82, s61                                    // 00000000F5D8: 80523D52
	v_mul_lo_u32 v7, v4, s82                                   // 00000000F5DC: D2850007 0000A504
	v_add_u32_e32 v76, v6, v7                                  // 00000000F5E4: 68980F06
	v_readlane_b32 s82, v3, 26                                 // 00000000F5E8: D2890052 00013503
	s_lshr_b32 s61, s82, 24                                    // 00000000F5F0: 8F3D9852
	s_and_b32 s82, s82, 0xffffff                               // 00000000F5F4: 8652FF52 00FFFFFF
	s_mul_i32 s82, s82, s71                                    // 00000000F5FC: 92524752
	s_mul_i32 s61, s60, s61                                    // 00000000F600: 923D3D3C
	s_add_u32 s82, s82, s61                                    // 00000000F604: 80523D52
	v_mul_lo_u32 v6, v5, s82                                   // 00000000F608: D2850006 0000A505
	v_readlane_b32 s82, v3, 27                                 // 00000000F610: D2890052 00013703
	s_lshr_b32 s61, s82, 24                                    // 00000000F618: 8F3D9852
	s_and_b32 s82, s82, 0xffffff                               // 00000000F61C: 8652FF52 00FFFFFF
	s_mul_i32 s82, s82, s71                                    // 00000000F624: 92524752
	s_mul_i32 s61, s60, s61                                    // 00000000F628: 923D3D3C
	s_add_u32 s82, s82, s61                                    // 00000000F62C: 80523D52
	v_mul_lo_u32 v7, v4, s82                                   // 00000000F630: D2850007 0000A504
	v_add_u32_e32 v77, v6, v7                                  // 00000000F638: 689A0F06
	v_readlane_b32 s82, v3, 28                                 // 00000000F63C: D2890052 00013903
	s_lshr_b32 s61, s82, 24                                    // 00000000F644: 8F3D9852
	s_and_b32 s82, s82, 0xffffff                               // 00000000F648: 8652FF52 00FFFFFF
	s_mul_i32 s82, s82, s71                                    // 00000000F650: 92524752
	s_mul_i32 s61, s60, s61                                    // 00000000F654: 923D3D3C
	s_add_u32 s82, s82, s61                                    // 00000000F658: 80523D52
	v_mul_lo_u32 v6, v5, s82                                   // 00000000F65C: D2850006 0000A505
	v_readlane_b32 s82, v3, 29                                 // 00000000F664: D2890052 00013B03
	s_lshr_b32 s61, s82, 24                                    // 00000000F66C: 8F3D9852
	s_and_b32 s82, s82, 0xffffff                               // 00000000F670: 8652FF52 00FFFFFF
	s_mul_i32 s82, s82, s71                                    // 00000000F678: 92524752
	s_mul_i32 s61, s60, s61                                    // 00000000F67C: 923D3D3C
	s_add_u32 s82, s82, s61                                    // 00000000F680: 80523D52
	v_mul_lo_u32 v7, v4, s82                                   // 00000000F684: D2850007 0000A504
	v_add_u32_e32 v78, v6, v7                                  // 00000000F68C: 689C0F06
	v_readlane_b32 s82, v3, 30                                 // 00000000F690: D2890052 00013D03
	s_lshr_b32 s61, s82, 24                                    // 00000000F698: 8F3D9852
	s_and_b32 s82, s82, 0xffffff                               // 00000000F69C: 8652FF52 00FFFFFF
	s_mul_i32 s82, s82, s71                                    // 00000000F6A4: 92524752
	s_mul_i32 s61, s60, s61                                    // 00000000F6A8: 923D3D3C
	s_add_u32 s82, s82, s61                                    // 00000000F6AC: 80523D52
	v_mul_lo_u32 v6, v5, s82                                   // 00000000F6B0: D2850006 0000A505
	v_readlane_b32 s82, v3, 31                                 // 00000000F6B8: D2890052 00013F03
	s_lshr_b32 s61, s82, 24                                    // 00000000F6C0: 8F3D9852
	s_and_b32 s82, s82, 0xffffff                               // 00000000F6C4: 8652FF52 00FFFFFF
	s_mul_i32 s82, s82, s71                                    // 00000000F6CC: 92524752
	s_mul_i32 s61, s60, s61                                    // 00000000F6D0: 923D3D3C
	s_add_u32 s82, s82, s61                                    // 00000000F6D4: 80523D52
	v_mul_lo_u32 v7, v4, s82                                   // 00000000F6D8: D2850007 0000A504
	v_add_u32_e32 v79, v6, v7                                  // 00000000F6E0: 689E0F06
	v_readlane_b32 s82, v3, 32                                 // 00000000F6E4: D2890052 00014103
	s_lshr_b32 s61, s82, 24                                    // 00000000F6EC: 8F3D9852
	s_and_b32 s82, s82, 0xffffff                               // 00000000F6F0: 8652FF52 00FFFFFF
	s_mul_i32 s82, s82, s71                                    // 00000000F6F8: 92524752
	s_mul_i32 s61, s60, s61                                    // 00000000F6FC: 923D3D3C
	s_add_u32 s82, s82, s61                                    // 00000000F700: 80523D52
	v_mul_lo_u32 v6, v5, s82                                   // 00000000F704: D2850006 0000A505
	v_readlane_b32 s82, v3, 33                                 // 00000000F70C: D2890052 00014303
	s_lshr_b32 s61, s82, 24                                    // 00000000F714: 8F3D9852
	s_and_b32 s82, s82, 0xffffff                               // 00000000F718: 8652FF52 00FFFFFF
	s_mul_i32 s82, s82, s71                                    // 00000000F720: 92524752
	s_mul_i32 s61, s60, s61                                    // 00000000F724: 923D3D3C
	s_add_u32 s82, s82, s61                                    // 00000000F728: 80523D52
	v_mul_lo_u32 v7, v4, s82                                   // 00000000F72C: D2850007 0000A504
	v_add_u32_e32 v80, v6, v7                                  // 00000000F734: 68A00F06
	v_readlane_b32 s82, v3, 34                                 // 00000000F738: D2890052 00014503
	s_lshr_b32 s61, s82, 24                                    // 00000000F740: 8F3D9852
	s_and_b32 s82, s82, 0xffffff                               // 00000000F744: 8652FF52 00FFFFFF
	s_mul_i32 s82, s82, s71                                    // 00000000F74C: 92524752
	s_mul_i32 s61, s60, s61                                    // 00000000F750: 923D3D3C
	s_add_u32 s82, s82, s61                                    // 00000000F754: 80523D52
	v_mul_lo_u32 v6, v5, s82                                   // 00000000F758: D2850006 0000A505
	v_readlane_b32 s82, v3, 35                                 // 00000000F760: D2890052 00014703
	s_lshr_b32 s61, s82, 24                                    // 00000000F768: 8F3D9852
	s_and_b32 s82, s82, 0xffffff                               // 00000000F76C: 8652FF52 00FFFFFF
	s_mul_i32 s82, s82, s71                                    // 00000000F774: 92524752
	s_mul_i32 s61, s60, s61                                    // 00000000F778: 923D3D3C
	s_add_u32 s82, s82, s61                                    // 00000000F77C: 80523D52
	v_mul_lo_u32 v7, v4, s82                                   // 00000000F780: D2850007 0000A504
	v_add_u32_e32 v81, v6, v7                                  // 00000000F788: 68A20F06
	v_and_b32_e32 v4, 31, v0                                   // 00000000F78C: 2608009F
	v_lshrrev_b32_e32 v4, 1, v4                                // 00000000F790: 20080881
	s_cmp_eq_u32 s88, 0                                        // 00000000F794: BF068058
	s_cselect_b32 s61, 2, 4                                    // 00000000F798: 853D8482
	v_mul_lo_u32 v4, v4, s61                                   // 00000000F79C: D2850004 00007B04
	v_and_b32_e64 v5, v0, 1                                    // 00000000F7A4: D1130005 00010300
	v_add_u32_e32 v4, v4, v5                                   // 00000000F7AC: 68080B04
	v_lshlrev_b32_e32 v4, 2, v4                                // 00000000F7B0: 24080882
	v_add_u32_e32 v64, v64, v4                                 // 00000000F7B4: 68800940
	v_add_u32_e32 v65, v65, v4                                 // 00000000F7B8: 68820941
	v_add_u32_e32 v66, v66, v4                                 // 00000000F7BC: 68840942
	v_add_u32_e32 v67, v67, v4                                 // 00000000F7C0: 68860943
	v_add_u32_e32 v68, v68, v4                                 // 00000000F7C4: 68880944
	v_add_u32_e32 v69, v69, v4                                 // 00000000F7C8: 688A0945
	v_add_u32_e32 v70, v70, v4                                 // 00000000F7CC: 688C0946
	v_add_u32_e32 v71, v71, v4                                 // 00000000F7D0: 688E0947
	v_add_u32_e32 v72, v72, v4                                 // 00000000F7D4: 68900948
	v_add_u32_e32 v73, v73, v4                                 // 00000000F7D8: 68920949
	v_add_u32_e32 v74, v74, v4                                 // 00000000F7DC: 6894094A
	v_add_u32_e32 v75, v75, v4                                 // 00000000F7E0: 6896094B
	v_add_u32_e32 v76, v76, v4                                 // 00000000F7E4: 6898094C
	v_add_u32_e32 v77, v77, v4                                 // 00000000F7E8: 689A094D
	v_add_u32_e32 v78, v78, v4                                 // 00000000F7EC: 689C094E
	v_add_u32_e32 v79, v79, v4                                 // 00000000F7F0: 689E094F
	v_add_u32_e32 v80, v80, v4                                 // 00000000F7F4: 68A00950
	v_add_u32_e32 v81, v81, v4                                 // 00000000F7F8: 68A20951
	s_waitcnt lgkmcnt(0)                                       // 00000000F7FC: BF8CC07F
	s_barrier                                                  // 00000000F800: BF8A0000
	ds_read_b32 v84, v21                                       // 00000000F804: D86C0000 54000015
	ds_read_b32 v85, v21 offset:64                             // 00000000F80C: D86C0040 55000015
	ds_read_b32 v88, v21 offset:2176                           // 00000000F814: D86C0880 58000015
	ds_read_b32 v89, v21 offset:2240                           // 00000000F81C: D86C08C0 59000015
	ds_read_b32 v92, v21 offset:4352                           // 00000000F824: D86C1100 5C000015
	ds_read_b32 v93, v21 offset:4416                           // 00000000F82C: D86C1140 5D000015
	ds_read_b32 v96, v21 offset:6528                           // 00000000F834: D86C1980 60000015
	ds_read_b32 v97, v21 offset:6592                           // 00000000F83C: D86C19C0 61000015
	ds_read_b32 v100, v21 offset:8704                          // 00000000F844: D86C2200 64000015
	ds_read_b32 v101, v21 offset:8768                          // 00000000F84C: D86C2240 65000015
	ds_read_b32 v104, v21 offset:10880                         // 00000000F854: D86C2A80 68000015
	ds_read_b32 v105, v21 offset:10944                         // 00000000F85C: D86C2AC0 69000015
	ds_read_b32 v108, v21 offset:13056                         // 00000000F864: D86C3300 6C000015
	ds_read_b32 v109, v21 offset:13120                         // 00000000F86C: D86C3340 6D000015
	ds_read_b32 v112, v21 offset:15232                         // 00000000F874: D86C3B80 70000015
	ds_read_b32 v113, v21 offset:15296                         // 00000000F87C: D86C3BC0 71000015
	ds_read_b32 v116, v21 offset:17408                         // 00000000F884: D86C4400 74000015
	ds_read_b32 v117, v21 offset:17472                         // 00000000F88C: D86C4440 75000015
	ds_read_b32 v120, v21 offset:19584                         // 00000000F894: D86C4C80 78000015
	ds_read_b32 v121, v21 offset:19648                         // 00000000F89C: D86C4CC0 79000015
	ds_read_b32 v124, v21 offset:21760                         // 00000000F8A4: D86C5500 7C000015
	ds_read_b32 v125, v21 offset:21824                         // 00000000F8AC: D86C5540 7D000015
	ds_read_b32 v128, v21 offset:23936                         // 00000000F8B4: D86C5D80 80000015
	ds_read_b32 v129, v21 offset:24000                         // 00000000F8BC: D86C5DC0 81000015
	ds_read_b32 v132, v21 offset:26112                         // 00000000F8C4: D86C6600 84000015
	ds_read_b32 v133, v21 offset:26176                         // 00000000F8CC: D86C6640 85000015
	ds_read_b32 v136, v21 offset:28288                         // 00000000F8D4: D86C6E80 88000015
	ds_read_b32 v137, v21 offset:28352                         // 00000000F8DC: D86C6EC0 89000015
	ds_read_b32 v140, v21 offset:30464                         // 00000000F8E4: D86C7700 8C000015
	ds_read_b32 v141, v21 offset:30528                         // 00000000F8EC: D86C7740 8D000015
	ds_read_b32 v144, v21 offset:32640                         // 00000000F8F4: D86C7F80 90000015
	ds_read_b32 v145, v21 offset:32704                         // 00000000F8FC: D86C7FC0 91000015
	ds_read_b32 v148, v21 offset:34816                         // 00000000F904: D86C8800 94000015
	ds_read_b32 v149, v21 offset:34880                         // 00000000F90C: D86C8840 95000015
	ds_read_b32 v152, v21 offset:36992                         // 00000000F914: D86C9080 98000015
	ds_read_b32 v153, v21 offset:37056                         // 00000000F91C: D86C90C0 99000015
	s_waitcnt lgkmcnt(0)                                       // 00000000F924: BF8CC07F
	s_mov_b32 s36, -1                                          // 00000000F928: BEA400C1
	s_mov_b32 s37, -1                                          // 00000000F92C: BEA500C1
	v_mov_b32_e32 v7, 0                                        // 00000000F930: 7E0E0280
	s_mov_b64 exec, s[36:37]                                   // 00000000F934: BEFE0124
	v_mov_b32_e32 v6, v64                                      // 00000000F938: 7E0C0340
	s_mov_b64 s[60:61], 0                                      // 00000000F93C: BEBC0180
	v_readlane_b32 s82, v3, 0                                  // 00000000F940: D2890052 00010103
	s_and_b32 s82, s82, 0xffffff                               // 00000000F948: 8652FF52 00FFFFFF
	s_cmp_lt_u32 s82, s66                                      // 00000000F950: BF0A4252
	s_cselect_b32 s20, s36, s60                                // 00000000F954: 85143C24
	v_readlane_b32 s82, v3, 1                                  // 00000000F958: D2890052 00010303
	s_and_b32 s82, s82, 0xffffff                               // 00000000F960: 8652FF52 00FFFFFF
	s_cmp_lt_u32 s82, s66                                      // 00000000F968: BF0A4252
	s_cselect_b32 s21, s36, s60                                // 00000000F96C: 85153C24
	s_mov_b64 exec, s[20:21]                                   // 00000000F970: BEFE0114
	global_atomic_add_f32 v6, v84, s[8:9]                      // 00000000F974: DD348000 00085406
	global_atomic_add_f32 v6, v88, s[8:9] offset:256           // 00000000F97C: DD348100 00085806
	s_mov_b64 exec, s[36:37]                                   // 00000000F984: BEFE0124
	v_mov_b32_e32 v6, v65                                      // 00000000F988: 7E0C0341
	s_mov_b64 s[60:61], 0                                      // 00000000F98C: BEBC0180
	v_readlane_b32 s82, v3, 2                                  // 00000000F990: D2890052 00010503
	s_and_b32 s82, s82, 0xffffff                               // 00000000F998: 8652FF52 00FFFFFF
	s_cmp_lt_u32 s82, s66                                      // 00000000F9A0: BF0A4252
	s_cselect_b32 s20, s36, s60                                // 00000000F9A4: 85143C24
	v_readlane_b32 s82, v3, 3                                  // 00000000F9A8: D2890052 00010703
	s_and_b32 s82, s82, 0xffffff                               // 00000000F9B0: 8652FF52 00FFFFFF
	s_cmp_lt_u32 s82, s66                                      // 00000000F9B8: BF0A4252
	s_cselect_b32 s21, s36, s60                                // 00000000F9BC: 85153C24
	s_mov_b64 exec, s[20:21]                                   // 00000000F9C0: BEFE0114
	global_atomic_add_f32 v6, v85, s[8:9]                      // 00000000F9C4: DD348000 00085506
	global_atomic_add_f32 v6, v89, s[8:9] offset:256           // 00000000F9CC: DD348100 00085906
	s_mov_b64 exec, s[36:37]                                   // 00000000F9D4: BEFE0124
	v_mov_b32_e32 v6, v66                                      // 00000000F9D8: 7E0C0342
	s_mov_b64 s[60:61], 0                                      // 00000000F9DC: BEBC0180
	v_readlane_b32 s82, v3, 4                                  // 00000000F9E0: D2890052 00010903
	s_and_b32 s82, s82, 0xffffff                               // 00000000F9E8: 8652FF52 00FFFFFF
	s_cmp_lt_u32 s82, s66                                      // 00000000F9F0: BF0A4252
	s_cselect_b32 s20, s36, s60                                // 00000000F9F4: 85143C24
	v_readlane_b32 s82, v3, 5                                  // 00000000F9F8: D2890052 00010B03
	s_and_b32 s82, s82, 0xffffff                               // 00000000FA00: 8652FF52 00FFFFFF
	s_cmp_lt_u32 s82, s66                                      // 00000000FA08: BF0A4252
	s_cselect_b32 s21, s36, s60                                // 00000000FA0C: 85153C24
	s_mov_b64 exec, s[20:21]                                   // 00000000FA10: BEFE0114
	global_atomic_add_f32 v6, v92, s[8:9]                      // 00000000FA14: DD348000 00085C06
	global_atomic_add_f32 v6, v96, s[8:9] offset:256           // 00000000FA1C: DD348100 00086006
	s_mov_b64 exec, s[36:37]                                   // 00000000FA24: BEFE0124
	v_mov_b32_e32 v6, v67                                      // 00000000FA28: 7E0C0343
	s_mov_b64 s[60:61], 0                                      // 00000000FA2C: BEBC0180
	v_readlane_b32 s82, v3, 6                                  // 00000000FA30: D2890052 00010D03
	s_and_b32 s82, s82, 0xffffff                               // 00000000FA38: 8652FF52 00FFFFFF
	s_cmp_lt_u32 s82, s66                                      // 00000000FA40: BF0A4252
	s_cselect_b32 s20, s36, s60                                // 00000000FA44: 85143C24
	v_readlane_b32 s82, v3, 7                                  // 00000000FA48: D2890052 00010F03
	s_and_b32 s82, s82, 0xffffff                               // 00000000FA50: 8652FF52 00FFFFFF
	s_cmp_lt_u32 s82, s66                                      // 00000000FA58: BF0A4252
	s_cselect_b32 s21, s36, s60                                // 00000000FA5C: 85153C24
	s_mov_b64 exec, s[20:21]                                   // 00000000FA60: BEFE0114
	global_atomic_add_f32 v6, v93, s[8:9]                      // 00000000FA64: DD348000 00085D06
	global_atomic_add_f32 v6, v97, s[8:9] offset:256           // 00000000FA6C: DD348100 00086106
	s_mov_b64 exec, s[36:37]                                   // 00000000FA74: BEFE0124
	v_mov_b32_e32 v6, v68                                      // 00000000FA78: 7E0C0344
	s_mov_b64 s[60:61], 0                                      // 00000000FA7C: BEBC0180
	v_readlane_b32 s82, v3, 8                                  // 00000000FA80: D2890052 00011103
	s_and_b32 s82, s82, 0xffffff                               // 00000000FA88: 8652FF52 00FFFFFF
	s_cmp_lt_u32 s82, s66                                      // 00000000FA90: BF0A4252
	s_cselect_b32 s20, s36, s60                                // 00000000FA94: 85143C24
	v_readlane_b32 s82, v3, 9                                  // 00000000FA98: D2890052 00011303
	s_and_b32 s82, s82, 0xffffff                               // 00000000FAA0: 8652FF52 00FFFFFF
	s_cmp_lt_u32 s82, s66                                      // 00000000FAA8: BF0A4252
	s_cselect_b32 s21, s36, s60                                // 00000000FAAC: 85153C24
	s_mov_b64 exec, s[20:21]                                   // 00000000FAB0: BEFE0114
	global_atomic_add_f32 v6, v100, s[8:9]                     // 00000000FAB4: DD348000 00086406
	global_atomic_add_f32 v6, v104, s[8:9] offset:256          // 00000000FABC: DD348100 00086806
	s_mov_b64 exec, s[36:37]                                   // 00000000FAC4: BEFE0124
	v_mov_b32_e32 v6, v69                                      // 00000000FAC8: 7E0C0345
	s_mov_b64 s[60:61], 0                                      // 00000000FACC: BEBC0180
	v_readlane_b32 s82, v3, 10                                 // 00000000FAD0: D2890052 00011503
	s_and_b32 s82, s82, 0xffffff                               // 00000000FAD8: 8652FF52 00FFFFFF
	s_cmp_lt_u32 s82, s66                                      // 00000000FAE0: BF0A4252
	s_cselect_b32 s20, s36, s60                                // 00000000FAE4: 85143C24
	v_readlane_b32 s82, v3, 11                                 // 00000000FAE8: D2890052 00011703
	s_and_b32 s82, s82, 0xffffff                               // 00000000FAF0: 8652FF52 00FFFFFF
	s_cmp_lt_u32 s82, s66                                      // 00000000FAF8: BF0A4252
	s_cselect_b32 s21, s36, s60                                // 00000000FAFC: 85153C24
	s_mov_b64 exec, s[20:21]                                   // 00000000FB00: BEFE0114
	global_atomic_add_f32 v6, v101, s[8:9]                     // 00000000FB04: DD348000 00086506
	global_atomic_add_f32 v6, v105, s[8:9] offset:256          // 00000000FB0C: DD348100 00086906
	s_mov_b64 exec, s[36:37]                                   // 00000000FB14: BEFE0124
	v_mov_b32_e32 v6, v70                                      // 00000000FB18: 7E0C0346
	s_mov_b64 s[60:61], 0                                      // 00000000FB1C: BEBC0180
	v_readlane_b32 s82, v3, 12                                 // 00000000FB20: D2890052 00011903
	s_and_b32 s82, s82, 0xffffff                               // 00000000FB28: 8652FF52 00FFFFFF
	s_cmp_lt_u32 s82, s66                                      // 00000000FB30: BF0A4252
	s_cselect_b32 s20, s36, s60                                // 00000000FB34: 85143C24
	v_readlane_b32 s82, v3, 13                                 // 00000000FB38: D2890052 00011B03
	s_and_b32 s82, s82, 0xffffff                               // 00000000FB40: 8652FF52 00FFFFFF
	s_cmp_lt_u32 s82, s66                                      // 00000000FB48: BF0A4252
	s_cselect_b32 s21, s36, s60                                // 00000000FB4C: 85153C24
	s_mov_b64 exec, s[20:21]                                   // 00000000FB50: BEFE0114
	global_atomic_add_f32 v6, v108, s[8:9]                     // 00000000FB54: DD348000 00086C06
	global_atomic_add_f32 v6, v112, s[8:9] offset:256          // 00000000FB5C: DD348100 00087006
	s_mov_b64 exec, s[36:37]                                   // 00000000FB64: BEFE0124
	v_mov_b32_e32 v6, v71                                      // 00000000FB68: 7E0C0347
	s_mov_b64 s[60:61], 0                                      // 00000000FB6C: BEBC0180
	v_readlane_b32 s82, v3, 14                                 // 00000000FB70: D2890052 00011D03
	s_and_b32 s82, s82, 0xffffff                               // 00000000FB78: 8652FF52 00FFFFFF
	s_cmp_lt_u32 s82, s66                                      // 00000000FB80: BF0A4252
	s_cselect_b32 s20, s36, s60                                // 00000000FB84: 85143C24
	v_readlane_b32 s82, v3, 15                                 // 00000000FB88: D2890052 00011F03
	s_and_b32 s82, s82, 0xffffff                               // 00000000FB90: 8652FF52 00FFFFFF
	s_cmp_lt_u32 s82, s66                                      // 00000000FB98: BF0A4252
	s_cselect_b32 s21, s36, s60                                // 00000000FB9C: 85153C24
	s_mov_b64 exec, s[20:21]                                   // 00000000FBA0: BEFE0114
	global_atomic_add_f32 v6, v109, s[8:9]                     // 00000000FBA4: DD348000 00086D06
	global_atomic_add_f32 v6, v113, s[8:9] offset:256          // 00000000FBAC: DD348100 00087106
	s_mov_b64 exec, s[36:37]                                   // 00000000FBB4: BEFE0124
	v_mov_b32_e32 v6, v72                                      // 00000000FBB8: 7E0C0348
	s_mov_b64 s[60:61], 0                                      // 00000000FBBC: BEBC0180
	v_readlane_b32 s82, v3, 16                                 // 00000000FBC0: D2890052 00012103
	s_and_b32 s82, s82, 0xffffff                               // 00000000FBC8: 8652FF52 00FFFFFF
	s_cmp_lt_u32 s82, s66                                      // 00000000FBD0: BF0A4252
	s_cselect_b32 s20, s36, s60                                // 00000000FBD4: 85143C24
	v_readlane_b32 s82, v3, 17                                 // 00000000FBD8: D2890052 00012303
	s_and_b32 s82, s82, 0xffffff                               // 00000000FBE0: 8652FF52 00FFFFFF
	s_cmp_lt_u32 s82, s66                                      // 00000000FBE8: BF0A4252
	s_cselect_b32 s21, s36, s60                                // 00000000FBEC: 85153C24
	s_mov_b64 exec, s[20:21]                                   // 00000000FBF0: BEFE0114
	global_atomic_add_f32 v6, v116, s[8:9]                     // 00000000FBF4: DD348000 00087406
	global_atomic_add_f32 v6, v120, s[8:9] offset:256          // 00000000FBFC: DD348100 00087806
	s_mov_b64 exec, s[36:37]                                   // 00000000FC04: BEFE0124
	v_mov_b32_e32 v6, v73                                      // 00000000FC08: 7E0C0349
	s_mov_b64 s[60:61], 0                                      // 00000000FC0C: BEBC0180
	v_readlane_b32 s82, v3, 18                                 // 00000000FC10: D2890052 00012503
	s_and_b32 s82, s82, 0xffffff                               // 00000000FC18: 8652FF52 00FFFFFF
	s_cmp_lt_u32 s82, s66                                      // 00000000FC20: BF0A4252
	s_cselect_b32 s20, s36, s60                                // 00000000FC24: 85143C24
	v_readlane_b32 s82, v3, 19                                 // 00000000FC28: D2890052 00012703
	s_and_b32 s82, s82, 0xffffff                               // 00000000FC30: 8652FF52 00FFFFFF
	s_cmp_lt_u32 s82, s66                                      // 00000000FC38: BF0A4252
	s_cselect_b32 s21, s36, s60                                // 00000000FC3C: 85153C24
	s_mov_b64 exec, s[20:21]                                   // 00000000FC40: BEFE0114
	global_atomic_add_f32 v6, v117, s[8:9]                     // 00000000FC44: DD348000 00087506
	global_atomic_add_f32 v6, v121, s[8:9] offset:256          // 00000000FC4C: DD348100 00087906
	s_mov_b64 exec, s[36:37]                                   // 00000000FC54: BEFE0124
	v_mov_b32_e32 v6, v74                                      // 00000000FC58: 7E0C034A
	s_mov_b64 s[60:61], 0                                      // 00000000FC5C: BEBC0180
	v_readlane_b32 s82, v3, 20                                 // 00000000FC60: D2890052 00012903
	s_and_b32 s82, s82, 0xffffff                               // 00000000FC68: 8652FF52 00FFFFFF
	s_cmp_lt_u32 s82, s66                                      // 00000000FC70: BF0A4252
	s_cselect_b32 s20, s36, s60                                // 00000000FC74: 85143C24
	v_readlane_b32 s82, v3, 21                                 // 00000000FC78: D2890052 00012B03
	s_and_b32 s82, s82, 0xffffff                               // 00000000FC80: 8652FF52 00FFFFFF
	s_cmp_lt_u32 s82, s66                                      // 00000000FC88: BF0A4252
	s_cselect_b32 s21, s36, s60                                // 00000000FC8C: 85153C24
	s_mov_b64 exec, s[20:21]                                   // 00000000FC90: BEFE0114
	global_atomic_add_f32 v6, v124, s[8:9]                     // 00000000FC94: DD348000 00087C06
	global_atomic_add_f32 v6, v128, s[8:9] offset:256          // 00000000FC9C: DD348100 00088006
	s_mov_b64 exec, s[36:37]                                   // 00000000FCA4: BEFE0124
	v_mov_b32_e32 v6, v75                                      // 00000000FCA8: 7E0C034B
	s_mov_b64 s[60:61], 0                                      // 00000000FCAC: BEBC0180
	v_readlane_b32 s82, v3, 22                                 // 00000000FCB0: D2890052 00012D03
	s_and_b32 s82, s82, 0xffffff                               // 00000000FCB8: 8652FF52 00FFFFFF
	s_cmp_lt_u32 s82, s66                                      // 00000000FCC0: BF0A4252
	s_cselect_b32 s20, s36, s60                                // 00000000FCC4: 85143C24
	v_readlane_b32 s82, v3, 23                                 // 00000000FCC8: D2890052 00012F03
	s_and_b32 s82, s82, 0xffffff                               // 00000000FCD0: 8652FF52 00FFFFFF
	s_cmp_lt_u32 s82, s66                                      // 00000000FCD8: BF0A4252
	s_cselect_b32 s21, s36, s60                                // 00000000FCDC: 85153C24
	s_mov_b64 exec, s[20:21]                                   // 00000000FCE0: BEFE0114
	global_atomic_add_f32 v6, v125, s[8:9]                     // 00000000FCE4: DD348000 00087D06
	global_atomic_add_f32 v6, v129, s[8:9] offset:256          // 00000000FCEC: DD348100 00088106
	s_mov_b64 exec, s[36:37]                                   // 00000000FCF4: BEFE0124
	v_mov_b32_e32 v6, v76                                      // 00000000FCF8: 7E0C034C
	s_mov_b64 s[60:61], 0                                      // 00000000FCFC: BEBC0180
	v_readlane_b32 s82, v3, 24                                 // 00000000FD00: D2890052 00013103
	s_and_b32 s82, s82, 0xffffff                               // 00000000FD08: 8652FF52 00FFFFFF
	s_cmp_lt_u32 s82, s66                                      // 00000000FD10: BF0A4252
	s_cselect_b32 s20, s36, s60                                // 00000000FD14: 85143C24
	v_readlane_b32 s82, v3, 25                                 // 00000000FD18: D2890052 00013303
	s_and_b32 s82, s82, 0xffffff                               // 00000000FD20: 8652FF52 00FFFFFF
	s_cmp_lt_u32 s82, s66                                      // 00000000FD28: BF0A4252
	s_cselect_b32 s21, s36, s60                                // 00000000FD2C: 85153C24
	s_mov_b64 exec, s[20:21]                                   // 00000000FD30: BEFE0114
	global_atomic_add_f32 v6, v132, s[8:9]                     // 00000000FD34: DD348000 00088406
	global_atomic_add_f32 v6, v136, s[8:9] offset:256          // 00000000FD3C: DD348100 00088806
	s_mov_b64 exec, s[36:37]                                   // 00000000FD44: BEFE0124
	v_mov_b32_e32 v6, v77                                      // 00000000FD48: 7E0C034D
	s_mov_b64 s[60:61], 0                                      // 00000000FD4C: BEBC0180
	v_readlane_b32 s82, v3, 26                                 // 00000000FD50: D2890052 00013503
	s_and_b32 s82, s82, 0xffffff                               // 00000000FD58: 8652FF52 00FFFFFF
	s_cmp_lt_u32 s82, s66                                      // 00000000FD60: BF0A4252
	s_cselect_b32 s20, s36, s60                                // 00000000FD64: 85143C24
	v_readlane_b32 s82, v3, 27                                 // 00000000FD68: D2890052 00013703
	s_and_b32 s82, s82, 0xffffff                               // 00000000FD70: 8652FF52 00FFFFFF
	s_cmp_lt_u32 s82, s66                                      // 00000000FD78: BF0A4252
	s_cselect_b32 s21, s36, s60                                // 00000000FD7C: 85153C24
	s_mov_b64 exec, s[20:21]                                   // 00000000FD80: BEFE0114
	global_atomic_add_f32 v6, v133, s[8:9]                     // 00000000FD84: DD348000 00088506
	global_atomic_add_f32 v6, v137, s[8:9] offset:256          // 00000000FD8C: DD348100 00088906
	s_mov_b64 exec, s[36:37]                                   // 00000000FD94: BEFE0124
	v_mov_b32_e32 v6, v78                                      // 00000000FD98: 7E0C034E
	s_mov_b64 s[60:61], 0                                      // 00000000FD9C: BEBC0180
	v_readlane_b32 s82, v3, 28                                 // 00000000FDA0: D2890052 00013903
	s_and_b32 s82, s82, 0xffffff                               // 00000000FDA8: 8652FF52 00FFFFFF
	s_cmp_lt_u32 s82, s66                                      // 00000000FDB0: BF0A4252
	s_cselect_b32 s20, s36, s60                                // 00000000FDB4: 85143C24
	v_readlane_b32 s82, v3, 29                                 // 00000000FDB8: D2890052 00013B03
	s_and_b32 s82, s82, 0xffffff                               // 00000000FDC0: 8652FF52 00FFFFFF
	s_cmp_lt_u32 s82, s66                                      // 00000000FDC8: BF0A4252
	s_cselect_b32 s21, s36, s60                                // 00000000FDCC: 85153C24
	s_mov_b64 exec, s[20:21]                                   // 00000000FDD0: BEFE0114
	global_atomic_add_f32 v6, v140, s[8:9]                     // 00000000FDD4: DD348000 00088C06
	global_atomic_add_f32 v6, v144, s[8:9] offset:256          // 00000000FDDC: DD348100 00089006
	s_mov_b64 exec, s[36:37]                                   // 00000000FDE4: BEFE0124
	v_mov_b32_e32 v6, v79                                      // 00000000FDE8: 7E0C034F
	s_mov_b64 s[60:61], 0                                      // 00000000FDEC: BEBC0180
	v_readlane_b32 s82, v3, 30                                 // 00000000FDF0: D2890052 00013D03
	s_and_b32 s82, s82, 0xffffff                               // 00000000FDF8: 8652FF52 00FFFFFF
	s_cmp_lt_u32 s82, s66                                      // 00000000FE00: BF0A4252
	s_cselect_b32 s20, s36, s60                                // 00000000FE04: 85143C24
	v_readlane_b32 s82, v3, 31                                 // 00000000FE08: D2890052 00013F03
	s_and_b32 s82, s82, 0xffffff                               // 00000000FE10: 8652FF52 00FFFFFF
	s_cmp_lt_u32 s82, s66                                      // 00000000FE18: BF0A4252
	s_cselect_b32 s21, s36, s60                                // 00000000FE1C: 85153C24
	s_mov_b64 exec, s[20:21]                                   // 00000000FE20: BEFE0114
	global_atomic_add_f32 v6, v141, s[8:9]                     // 00000000FE24: DD348000 00088D06
	global_atomic_add_f32 v6, v145, s[8:9] offset:256          // 00000000FE2C: DD348100 00089106
	s_mov_b64 exec, s[36:37]                                   // 00000000FE34: BEFE0124
	v_mov_b32_e32 v6, v80                                      // 00000000FE38: 7E0C0350
	s_mov_b64 s[60:61], 0                                      // 00000000FE3C: BEBC0180
	v_readlane_b32 s82, v3, 32                                 // 00000000FE40: D2890052 00014103
	s_and_b32 s82, s82, 0xffffff                               // 00000000FE48: 8652FF52 00FFFFFF
	s_cmp_lt_u32 s82, s66                                      // 00000000FE50: BF0A4252
	s_cselect_b32 s20, s36, s60                                // 00000000FE54: 85143C24
	v_readlane_b32 s82, v3, 33                                 // 00000000FE58: D2890052 00014303
	s_and_b32 s82, s82, 0xffffff                               // 00000000FE60: 8652FF52 00FFFFFF
	s_cmp_lt_u32 s82, s66                                      // 00000000FE68: BF0A4252
	s_cselect_b32 s21, s36, s60                                // 00000000FE6C: 85153C24
	s_mov_b64 exec, s[20:21]                                   // 00000000FE70: BEFE0114
	global_atomic_add_f32 v6, v148, s[8:9]                     // 00000000FE74: DD348000 00089406
	global_atomic_add_f32 v6, v152, s[8:9] offset:256          // 00000000FE7C: DD348100 00089806
	s_mov_b64 exec, s[36:37]                                   // 00000000FE84: BEFE0124
	v_mov_b32_e32 v6, v81                                      // 00000000FE88: 7E0C0351
	s_mov_b64 s[60:61], 0                                      // 00000000FE8C: BEBC0180
	v_readlane_b32 s82, v3, 34                                 // 00000000FE90: D2890052 00014503
	s_and_b32 s82, s82, 0xffffff                               // 00000000FE98: 8652FF52 00FFFFFF
	s_cmp_lt_u32 s82, s66                                      // 00000000FEA0: BF0A4252
	s_cselect_b32 s20, s36, s60                                // 00000000FEA4: 85143C24
	v_readlane_b32 s82, v3, 35                                 // 00000000FEA8: D2890052 00014703
	s_and_b32 s82, s82, 0xffffff                               // 00000000FEB0: 8652FF52 00FFFFFF
	s_cmp_lt_u32 s82, s66                                      // 00000000FEB8: BF0A4252
	s_cselect_b32 s21, s36, s60                                // 00000000FEBC: 85153C24
	s_mov_b64 exec, s[20:21]                                   // 00000000FEC0: BEFE0114
	global_atomic_add_f32 v6, v149, s[8:9]                     // 00000000FEC4: DD348000 00089506
	global_atomic_add_f32 v6, v153, s[8:9] offset:256          // 00000000FECC: DD348100 00089906
	s_mov_b64 exec, s[36:37]                                   // 00000000FED4: BEFE0124
	ds_write_b64 v20, v[86:87]                                 // 00000000FED8: D89A0000 00005614
	ds_write_b64 v20, v[90:91] offset:4352                     // 00000000FEE0: D89A1100 00005A14
	ds_write_b64 v20, v[94:95] offset:8704                     // 00000000FEE8: D89A2200 00005E14
	ds_write_b64 v20, v[98:99] offset:13056                    // 00000000FEF0: D89A3300 00006214
	ds_write_b64 v20, v[102:103] offset:17408                  // 00000000FEF8: D89A4400 00006614
	ds_write_b64 v20, v[106:107] offset:21760                  // 00000000FF00: D89A5500 00006A14
	ds_write_b64 v20, v[110:111] offset:26112                  // 00000000FF08: D89A6600 00006E14
	ds_write_b64 v20, v[114:115] offset:30464                  // 00000000FF10: D89A7700 00007214
	ds_write_b64 v20, v[118:119] offset:34816                  // 00000000FF18: D89A8800 00007614
	ds_write_b64 v20, v[122:123] offset:2176                   // 00000000FF20: D89A0880 00007A14
	ds_write_b64 v20, v[126:127] offset:6528                   // 00000000FF28: D89A1980 00007E14
	ds_write_b64 v20, v[130:131] offset:10880                  // 00000000FF30: D89A2A80 00008214
	ds_write_b64 v20, v[134:135] offset:15232                  // 00000000FF38: D89A3B80 00008614
	ds_write_b64 v20, v[138:139] offset:19584                  // 00000000FF40: D89A4C80 00008A14
	ds_write_b64 v20, v[142:143] offset:23936                  // 00000000FF48: D89A5D80 00008E14
	ds_write_b64 v20, v[146:147] offset:28288                  // 00000000FF50: D89A6E80 00009214
	ds_write_b64 v20, v[150:151] offset:32640                  // 00000000FF58: D89A7F80 00009614
	ds_write_b64 v20, v[154:155] offset:36992                  // 00000000FF60: D89A9080 00009A14
	s_waitcnt lgkmcnt(0)                                       // 00000000FF68: BF8CC07F
	s_barrier                                                  // 00000000FF6C: BF8A0000
	ds_read_b32 v86, v21                                       // 00000000FF70: D86C0000 56000015
	ds_read_b32 v87, v21 offset:64                             // 00000000FF78: D86C0040 57000015
	ds_read_b32 v90, v21 offset:2176                           // 00000000FF80: D86C0880 5A000015
	ds_read_b32 v91, v21 offset:2240                           // 00000000FF88: D86C08C0 5B000015
	ds_read_b32 v94, v21 offset:4352                           // 00000000FF90: D86C1100 5E000015
	ds_read_b32 v95, v21 offset:4416                           // 00000000FF98: D86C1140 5F000015
	ds_read_b32 v98, v21 offset:6528                           // 00000000FFA0: D86C1980 62000015
	ds_read_b32 v99, v21 offset:6592                           // 00000000FFA8: D86C19C0 63000015
	ds_read_b32 v102, v21 offset:8704                          // 00000000FFB0: D86C2200 66000015
	ds_read_b32 v103, v21 offset:8768                          // 00000000FFB8: D86C2240 67000015
	ds_read_b32 v106, v21 offset:10880                         // 00000000FFC0: D86C2A80 6A000015
	ds_read_b32 v107, v21 offset:10944                         // 00000000FFC8: D86C2AC0 6B000015
	ds_read_b32 v110, v21 offset:13056                         // 00000000FFD0: D86C3300 6E000015
	ds_read_b32 v111, v21 offset:13120                         // 00000000FFD8: D86C3340 6F000015
	ds_read_b32 v114, v21 offset:15232                         // 00000000FFE0: D86C3B80 72000015
	ds_read_b32 v115, v21 offset:15296                         // 00000000FFE8: D86C3BC0 73000015
	ds_read_b32 v118, v21 offset:17408                         // 00000000FFF0: D86C4400 76000015
	ds_read_b32 v119, v21 offset:17472                         // 00000000FFF8: D86C4440 77000015
	ds_read_b32 v122, v21 offset:19584                         // 000000010000: D86C4C80 7A000015
	ds_read_b32 v123, v21 offset:19648                         // 000000010008: D86C4CC0 7B000015
	ds_read_b32 v126, v21 offset:21760                         // 000000010010: D86C5500 7E000015
	ds_read_b32 v127, v21 offset:21824                         // 000000010018: D86C5540 7F000015
	ds_read_b32 v130, v21 offset:23936                         // 000000010020: D86C5D80 82000015
	ds_read_b32 v131, v21 offset:24000                         // 000000010028: D86C5DC0 83000015
	ds_read_b32 v134, v21 offset:26112                         // 000000010030: D86C6600 86000015
	ds_read_b32 v135, v21 offset:26176                         // 000000010038: D86C6640 87000015
	ds_read_b32 v138, v21 offset:28288                         // 000000010040: D86C6E80 8A000015
	ds_read_b32 v139, v21 offset:28352                         // 000000010048: D86C6EC0 8B000015
	ds_read_b32 v142, v21 offset:30464                         // 000000010050: D86C7700 8E000015
	ds_read_b32 v143, v21 offset:30528                         // 000000010058: D86C7740 8F000015
	ds_read_b32 v146, v21 offset:32640                         // 000000010060: D86C7F80 92000015
	ds_read_b32 v147, v21 offset:32704                         // 000000010068: D86C7FC0 93000015
	ds_read_b32 v150, v21 offset:34816                         // 000000010070: D86C8800 96000015
	ds_read_b32 v151, v21 offset:34880                         // 000000010078: D86C8840 97000015
	ds_read_b32 v154, v21 offset:36992                         // 000000010080: D86C9080 9A000015
	ds_read_b32 v155, v21 offset:37056                         // 000000010088: D86C90C0 9B000015
	s_waitcnt lgkmcnt(0)                                       // 000000010090: BF8CC07F
	v_mov_b32_e32 v7, 0                                        // 000000010094: 7E0E0280
	s_mov_b64 exec, s[36:37]                                   // 000000010098: BEFE0124
	v_mov_b32_e32 v6, v64                                      // 00000001009C: 7E0C0340
	s_mov_b64 s[60:61], 0                                      // 0000000100A0: BEBC0180
	v_readlane_b32 s82, v3, 0                                  // 0000000100A4: D2890052 00010103
	s_and_b32 s82, s82, 0xffffff                               // 0000000100AC: 8652FF52 00FFFFFF
	s_cmp_lt_u32 s82, s66                                      // 0000000100B4: BF0A4252
	s_cselect_b32 s20, s36, s60                                // 0000000100B8: 85143C24
	v_readlane_b32 s82, v3, 1                                  // 0000000100BC: D2890052 00010303
	s_and_b32 s82, s82, 0xffffff                               // 0000000100C4: 8652FF52 00FFFFFF
	s_cmp_lt_u32 s82, s66                                      // 0000000100CC: BF0A4252
	s_cselect_b32 s21, s36, s60                                // 0000000100D0: 85153C24
	s_mov_b64 exec, s[20:21]                                   // 0000000100D4: BEFE0114
	global_atomic_add_f32 v6, v86, s[8:9] offset:8             // 0000000100D8: DD348008 00085606
	global_atomic_add_f32 v6, v90, s[8:9] offset:264           // 0000000100E0: DD348108 00085A06
	s_mov_b64 exec, s[36:37]                                   // 0000000100E8: BEFE0124
	v_mov_b32_e32 v6, v65                                      // 0000000100EC: 7E0C0341
	s_mov_b64 s[60:61], 0                                      // 0000000100F0: BEBC0180
	v_readlane_b32 s82, v3, 2                                  // 0000000100F4: D2890052 00010503
	s_and_b32 s82, s82, 0xffffff                               // 0000000100FC: 8652FF52 00FFFFFF
	s_cmp_lt_u32 s82, s66                                      // 000000010104: BF0A4252
	s_cselect_b32 s20, s36, s60                                // 000000010108: 85143C24
	v_readlane_b32 s82, v3, 3                                  // 00000001010C: D2890052 00010703
	s_and_b32 s82, s82, 0xffffff                               // 000000010114: 8652FF52 00FFFFFF
	s_cmp_lt_u32 s82, s66                                      // 00000001011C: BF0A4252
	s_cselect_b32 s21, s36, s60                                // 000000010120: 85153C24
	s_mov_b64 exec, s[20:21]                                   // 000000010124: BEFE0114
	global_atomic_add_f32 v6, v87, s[8:9] offset:8             // 000000010128: DD348008 00085706
	global_atomic_add_f32 v6, v91, s[8:9] offset:264           // 000000010130: DD348108 00085B06
	s_mov_b64 exec, s[36:37]                                   // 000000010138: BEFE0124
	v_mov_b32_e32 v6, v66                                      // 00000001013C: 7E0C0342
	s_mov_b64 s[60:61], 0                                      // 000000010140: BEBC0180
	v_readlane_b32 s82, v3, 4                                  // 000000010144: D2890052 00010903
	s_and_b32 s82, s82, 0xffffff                               // 00000001014C: 8652FF52 00FFFFFF
	s_cmp_lt_u32 s82, s66                                      // 000000010154: BF0A4252
	s_cselect_b32 s20, s36, s60                                // 000000010158: 85143C24
	v_readlane_b32 s82, v3, 5                                  // 00000001015C: D2890052 00010B03
	s_and_b32 s82, s82, 0xffffff                               // 000000010164: 8652FF52 00FFFFFF
	s_cmp_lt_u32 s82, s66                                      // 00000001016C: BF0A4252
	s_cselect_b32 s21, s36, s60                                // 000000010170: 85153C24
	s_mov_b64 exec, s[20:21]                                   // 000000010174: BEFE0114
	global_atomic_add_f32 v6, v94, s[8:9] offset:8             // 000000010178: DD348008 00085E06
	global_atomic_add_f32 v6, v98, s[8:9] offset:264           // 000000010180: DD348108 00086206
	s_mov_b64 exec, s[36:37]                                   // 000000010188: BEFE0124
	v_mov_b32_e32 v6, v67                                      // 00000001018C: 7E0C0343
	s_mov_b64 s[60:61], 0                                      // 000000010190: BEBC0180
	v_readlane_b32 s82, v3, 6                                  // 000000010194: D2890052 00010D03
	s_and_b32 s82, s82, 0xffffff                               // 00000001019C: 8652FF52 00FFFFFF
	s_cmp_lt_u32 s82, s66                                      // 0000000101A4: BF0A4252
	s_cselect_b32 s20, s36, s60                                // 0000000101A8: 85143C24
	v_readlane_b32 s82, v3, 7                                  // 0000000101AC: D2890052 00010F03
	s_and_b32 s82, s82, 0xffffff                               // 0000000101B4: 8652FF52 00FFFFFF
	s_cmp_lt_u32 s82, s66                                      // 0000000101BC: BF0A4252
	s_cselect_b32 s21, s36, s60                                // 0000000101C0: 85153C24
	s_mov_b64 exec, s[20:21]                                   // 0000000101C4: BEFE0114
	global_atomic_add_f32 v6, v95, s[8:9] offset:8             // 0000000101C8: DD348008 00085F06
	global_atomic_add_f32 v6, v99, s[8:9] offset:264           // 0000000101D0: DD348108 00086306
	s_mov_b64 exec, s[36:37]                                   // 0000000101D8: BEFE0124
	v_mov_b32_e32 v6, v68                                      // 0000000101DC: 7E0C0344
	s_mov_b64 s[60:61], 0                                      // 0000000101E0: BEBC0180
	v_readlane_b32 s82, v3, 8                                  // 0000000101E4: D2890052 00011103
	s_and_b32 s82, s82, 0xffffff                               // 0000000101EC: 8652FF52 00FFFFFF
	s_cmp_lt_u32 s82, s66                                      // 0000000101F4: BF0A4252
	s_cselect_b32 s20, s36, s60                                // 0000000101F8: 85143C24
	v_readlane_b32 s82, v3, 9                                  // 0000000101FC: D2890052 00011303
	s_and_b32 s82, s82, 0xffffff                               // 000000010204: 8652FF52 00FFFFFF
	s_cmp_lt_u32 s82, s66                                      // 00000001020C: BF0A4252
	s_cselect_b32 s21, s36, s60                                // 000000010210: 85153C24
	s_mov_b64 exec, s[20:21]                                   // 000000010214: BEFE0114
	global_atomic_add_f32 v6, v102, s[8:9] offset:8            // 000000010218: DD348008 00086606
	global_atomic_add_f32 v6, v106, s[8:9] offset:264          // 000000010220: DD348108 00086A06
	s_mov_b64 exec, s[36:37]                                   // 000000010228: BEFE0124
	v_mov_b32_e32 v6, v69                                      // 00000001022C: 7E0C0345
	s_mov_b64 s[60:61], 0                                      // 000000010230: BEBC0180
	v_readlane_b32 s82, v3, 10                                 // 000000010234: D2890052 00011503
	s_and_b32 s82, s82, 0xffffff                               // 00000001023C: 8652FF52 00FFFFFF
	s_cmp_lt_u32 s82, s66                                      // 000000010244: BF0A4252
	s_cselect_b32 s20, s36, s60                                // 000000010248: 85143C24
	v_readlane_b32 s82, v3, 11                                 // 00000001024C: D2890052 00011703
	s_and_b32 s82, s82, 0xffffff                               // 000000010254: 8652FF52 00FFFFFF
	s_cmp_lt_u32 s82, s66                                      // 00000001025C: BF0A4252
	s_cselect_b32 s21, s36, s60                                // 000000010260: 85153C24
	s_mov_b64 exec, s[20:21]                                   // 000000010264: BEFE0114
	global_atomic_add_f32 v6, v103, s[8:9] offset:8            // 000000010268: DD348008 00086706
	global_atomic_add_f32 v6, v107, s[8:9] offset:264          // 000000010270: DD348108 00086B06
	s_mov_b64 exec, s[36:37]                                   // 000000010278: BEFE0124
	v_mov_b32_e32 v6, v70                                      // 00000001027C: 7E0C0346
	s_mov_b64 s[60:61], 0                                      // 000000010280: BEBC0180
	v_readlane_b32 s82, v3, 12                                 // 000000010284: D2890052 00011903
	s_and_b32 s82, s82, 0xffffff                               // 00000001028C: 8652FF52 00FFFFFF
	s_cmp_lt_u32 s82, s66                                      // 000000010294: BF0A4252
	s_cselect_b32 s20, s36, s60                                // 000000010298: 85143C24
	v_readlane_b32 s82, v3, 13                                 // 00000001029C: D2890052 00011B03
	s_and_b32 s82, s82, 0xffffff                               // 0000000102A4: 8652FF52 00FFFFFF
	s_cmp_lt_u32 s82, s66                                      // 0000000102AC: BF0A4252
	s_cselect_b32 s21, s36, s60                                // 0000000102B0: 85153C24
	s_mov_b64 exec, s[20:21]                                   // 0000000102B4: BEFE0114
	global_atomic_add_f32 v6, v110, s[8:9] offset:8            // 0000000102B8: DD348008 00086E06
	global_atomic_add_f32 v6, v114, s[8:9] offset:264          // 0000000102C0: DD348108 00087206
	s_mov_b64 exec, s[36:37]                                   // 0000000102C8: BEFE0124
	v_mov_b32_e32 v6, v71                                      // 0000000102CC: 7E0C0347
	s_mov_b64 s[60:61], 0                                      // 0000000102D0: BEBC0180
	v_readlane_b32 s82, v3, 14                                 // 0000000102D4: D2890052 00011D03
	s_and_b32 s82, s82, 0xffffff                               // 0000000102DC: 8652FF52 00FFFFFF
	s_cmp_lt_u32 s82, s66                                      // 0000000102E4: BF0A4252
	s_cselect_b32 s20, s36, s60                                // 0000000102E8: 85143C24
	v_readlane_b32 s82, v3, 15                                 // 0000000102EC: D2890052 00011F03
	s_and_b32 s82, s82, 0xffffff                               // 0000000102F4: 8652FF52 00FFFFFF
	s_cmp_lt_u32 s82, s66                                      // 0000000102FC: BF0A4252
	s_cselect_b32 s21, s36, s60                                // 000000010300: 85153C24
	s_mov_b64 exec, s[20:21]                                   // 000000010304: BEFE0114
	global_atomic_add_f32 v6, v111, s[8:9] offset:8            // 000000010308: DD348008 00086F06
	global_atomic_add_f32 v6, v115, s[8:9] offset:264          // 000000010310: DD348108 00087306
	s_mov_b64 exec, s[36:37]                                   // 000000010318: BEFE0124
	v_mov_b32_e32 v6, v72                                      // 00000001031C: 7E0C0348
	s_mov_b64 s[60:61], 0                                      // 000000010320: BEBC0180
	v_readlane_b32 s82, v3, 16                                 // 000000010324: D2890052 00012103
	s_and_b32 s82, s82, 0xffffff                               // 00000001032C: 8652FF52 00FFFFFF
	s_cmp_lt_u32 s82, s66                                      // 000000010334: BF0A4252
	s_cselect_b32 s20, s36, s60                                // 000000010338: 85143C24
	v_readlane_b32 s82, v3, 17                                 // 00000001033C: D2890052 00012303
	s_and_b32 s82, s82, 0xffffff                               // 000000010344: 8652FF52 00FFFFFF
	s_cmp_lt_u32 s82, s66                                      // 00000001034C: BF0A4252
	s_cselect_b32 s21, s36, s60                                // 000000010350: 85153C24
	s_mov_b64 exec, s[20:21]                                   // 000000010354: BEFE0114
	global_atomic_add_f32 v6, v118, s[8:9] offset:8            // 000000010358: DD348008 00087606
	global_atomic_add_f32 v6, v122, s[8:9] offset:264          // 000000010360: DD348108 00087A06
	s_mov_b64 exec, s[36:37]                                   // 000000010368: BEFE0124
	v_mov_b32_e32 v6, v73                                      // 00000001036C: 7E0C0349
	s_mov_b64 s[60:61], 0                                      // 000000010370: BEBC0180
	v_readlane_b32 s82, v3, 18                                 // 000000010374: D2890052 00012503
	s_and_b32 s82, s82, 0xffffff                               // 00000001037C: 8652FF52 00FFFFFF
	s_cmp_lt_u32 s82, s66                                      // 000000010384: BF0A4252
	s_cselect_b32 s20, s36, s60                                // 000000010388: 85143C24
	v_readlane_b32 s82, v3, 19                                 // 00000001038C: D2890052 00012703
	s_and_b32 s82, s82, 0xffffff                               // 000000010394: 8652FF52 00FFFFFF
	s_cmp_lt_u32 s82, s66                                      // 00000001039C: BF0A4252
	s_cselect_b32 s21, s36, s60                                // 0000000103A0: 85153C24
	s_mov_b64 exec, s[20:21]                                   // 0000000103A4: BEFE0114
	global_atomic_add_f32 v6, v119, s[8:9] offset:8            // 0000000103A8: DD348008 00087706
	global_atomic_add_f32 v6, v123, s[8:9] offset:264          // 0000000103B0: DD348108 00087B06
	s_mov_b64 exec, s[36:37]                                   // 0000000103B8: BEFE0124
	v_mov_b32_e32 v6, v74                                      // 0000000103BC: 7E0C034A
	s_mov_b64 s[60:61], 0                                      // 0000000103C0: BEBC0180
	v_readlane_b32 s82, v3, 20                                 // 0000000103C4: D2890052 00012903
	s_and_b32 s82, s82, 0xffffff                               // 0000000103CC: 8652FF52 00FFFFFF
	s_cmp_lt_u32 s82, s66                                      // 0000000103D4: BF0A4252
	s_cselect_b32 s20, s36, s60                                // 0000000103D8: 85143C24
	v_readlane_b32 s82, v3, 21                                 // 0000000103DC: D2890052 00012B03
	s_and_b32 s82, s82, 0xffffff                               // 0000000103E4: 8652FF52 00FFFFFF
	s_cmp_lt_u32 s82, s66                                      // 0000000103EC: BF0A4252
	s_cselect_b32 s21, s36, s60                                // 0000000103F0: 85153C24
	s_mov_b64 exec, s[20:21]                                   // 0000000103F4: BEFE0114
	global_atomic_add_f32 v6, v126, s[8:9] offset:8            // 0000000103F8: DD348008 00087E06
	global_atomic_add_f32 v6, v130, s[8:9] offset:264          // 000000010400: DD348108 00088206
	s_mov_b64 exec, s[36:37]                                   // 000000010408: BEFE0124
	v_mov_b32_e32 v6, v75                                      // 00000001040C: 7E0C034B
	s_mov_b64 s[60:61], 0                                      // 000000010410: BEBC0180
	v_readlane_b32 s82, v3, 22                                 // 000000010414: D2890052 00012D03
	s_and_b32 s82, s82, 0xffffff                               // 00000001041C: 8652FF52 00FFFFFF
	s_cmp_lt_u32 s82, s66                                      // 000000010424: BF0A4252
	s_cselect_b32 s20, s36, s60                                // 000000010428: 85143C24
	v_readlane_b32 s82, v3, 23                                 // 00000001042C: D2890052 00012F03
	s_and_b32 s82, s82, 0xffffff                               // 000000010434: 8652FF52 00FFFFFF
	s_cmp_lt_u32 s82, s66                                      // 00000001043C: BF0A4252
	s_cselect_b32 s21, s36, s60                                // 000000010440: 85153C24
	s_mov_b64 exec, s[20:21]                                   // 000000010444: BEFE0114
	global_atomic_add_f32 v6, v127, s[8:9] offset:8            // 000000010448: DD348008 00087F06
	global_atomic_add_f32 v6, v131, s[8:9] offset:264          // 000000010450: DD348108 00088306
	s_mov_b64 exec, s[36:37]                                   // 000000010458: BEFE0124
	v_mov_b32_e32 v6, v76                                      // 00000001045C: 7E0C034C
	s_mov_b64 s[60:61], 0                                      // 000000010460: BEBC0180
	v_readlane_b32 s82, v3, 24                                 // 000000010464: D2890052 00013103
	s_and_b32 s82, s82, 0xffffff                               // 00000001046C: 8652FF52 00FFFFFF
	s_cmp_lt_u32 s82, s66                                      // 000000010474: BF0A4252
	s_cselect_b32 s20, s36, s60                                // 000000010478: 85143C24
	v_readlane_b32 s82, v3, 25                                 // 00000001047C: D2890052 00013303
	s_and_b32 s82, s82, 0xffffff                               // 000000010484: 8652FF52 00FFFFFF
	s_cmp_lt_u32 s82, s66                                      // 00000001048C: BF0A4252
	s_cselect_b32 s21, s36, s60                                // 000000010490: 85153C24
	s_mov_b64 exec, s[20:21]                                   // 000000010494: BEFE0114
	global_atomic_add_f32 v6, v134, s[8:9] offset:8            // 000000010498: DD348008 00088606
	global_atomic_add_f32 v6, v138, s[8:9] offset:264          // 0000000104A0: DD348108 00088A06
	s_mov_b64 exec, s[36:37]                                   // 0000000104A8: BEFE0124
	v_mov_b32_e32 v6, v77                                      // 0000000104AC: 7E0C034D
	s_mov_b64 s[60:61], 0                                      // 0000000104B0: BEBC0180
	v_readlane_b32 s82, v3, 26                                 // 0000000104B4: D2890052 00013503
	s_and_b32 s82, s82, 0xffffff                               // 0000000104BC: 8652FF52 00FFFFFF
	s_cmp_lt_u32 s82, s66                                      // 0000000104C4: BF0A4252
	s_cselect_b32 s20, s36, s60                                // 0000000104C8: 85143C24
	v_readlane_b32 s82, v3, 27                                 // 0000000104CC: D2890052 00013703
	s_and_b32 s82, s82, 0xffffff                               // 0000000104D4: 8652FF52 00FFFFFF
	s_cmp_lt_u32 s82, s66                                      // 0000000104DC: BF0A4252
	s_cselect_b32 s21, s36, s60                                // 0000000104E0: 85153C24
	s_mov_b64 exec, s[20:21]                                   // 0000000104E4: BEFE0114
	global_atomic_add_f32 v6, v135, s[8:9] offset:8            // 0000000104E8: DD348008 00088706
	global_atomic_add_f32 v6, v139, s[8:9] offset:264          // 0000000104F0: DD348108 00088B06
	s_mov_b64 exec, s[36:37]                                   // 0000000104F8: BEFE0124
	v_mov_b32_e32 v6, v78                                      // 0000000104FC: 7E0C034E
	s_mov_b64 s[60:61], 0                                      // 000000010500: BEBC0180
	v_readlane_b32 s82, v3, 28                                 // 000000010504: D2890052 00013903
	s_and_b32 s82, s82, 0xffffff                               // 00000001050C: 8652FF52 00FFFFFF
	s_cmp_lt_u32 s82, s66                                      // 000000010514: BF0A4252
	s_cselect_b32 s20, s36, s60                                // 000000010518: 85143C24
	v_readlane_b32 s82, v3, 29                                 // 00000001051C: D2890052 00013B03
	s_and_b32 s82, s82, 0xffffff                               // 000000010524: 8652FF52 00FFFFFF
	s_cmp_lt_u32 s82, s66                                      // 00000001052C: BF0A4252
	s_cselect_b32 s21, s36, s60                                // 000000010530: 85153C24
	s_mov_b64 exec, s[20:21]                                   // 000000010534: BEFE0114
	global_atomic_add_f32 v6, v142, s[8:9] offset:8            // 000000010538: DD348008 00088E06
	global_atomic_add_f32 v6, v146, s[8:9] offset:264          // 000000010540: DD348108 00089206
	s_mov_b64 exec, s[36:37]                                   // 000000010548: BEFE0124
	v_mov_b32_e32 v6, v79                                      // 00000001054C: 7E0C034F
	s_mov_b64 s[60:61], 0                                      // 000000010550: BEBC0180
	v_readlane_b32 s82, v3, 30                                 // 000000010554: D2890052 00013D03
	s_and_b32 s82, s82, 0xffffff                               // 00000001055C: 8652FF52 00FFFFFF
	s_cmp_lt_u32 s82, s66                                      // 000000010564: BF0A4252
	s_cselect_b32 s20, s36, s60                                // 000000010568: 85143C24
	v_readlane_b32 s82, v3, 31                                 // 00000001056C: D2890052 00013F03
	s_and_b32 s82, s82, 0xffffff                               // 000000010574: 8652FF52 00FFFFFF
	s_cmp_lt_u32 s82, s66                                      // 00000001057C: BF0A4252
	s_cselect_b32 s21, s36, s60                                // 000000010580: 85153C24
	s_mov_b64 exec, s[20:21]                                   // 000000010584: BEFE0114
	global_atomic_add_f32 v6, v143, s[8:9] offset:8            // 000000010588: DD348008 00088F06
	global_atomic_add_f32 v6, v147, s[8:9] offset:264          // 000000010590: DD348108 00089306
	s_mov_b64 exec, s[36:37]                                   // 000000010598: BEFE0124
	v_mov_b32_e32 v6, v80                                      // 00000001059C: 7E0C0350
	s_mov_b64 s[60:61], 0                                      // 0000000105A0: BEBC0180
	v_readlane_b32 s82, v3, 32                                 // 0000000105A4: D2890052 00014103
	s_and_b32 s82, s82, 0xffffff                               // 0000000105AC: 8652FF52 00FFFFFF
	s_cmp_lt_u32 s82, s66                                      // 0000000105B4: BF0A4252
	s_cselect_b32 s20, s36, s60                                // 0000000105B8: 85143C24
	v_readlane_b32 s82, v3, 33                                 // 0000000105BC: D2890052 00014303
	s_and_b32 s82, s82, 0xffffff                               // 0000000105C4: 8652FF52 00FFFFFF
	s_cmp_lt_u32 s82, s66                                      // 0000000105CC: BF0A4252
	s_cselect_b32 s21, s36, s60                                // 0000000105D0: 85153C24
	s_mov_b64 exec, s[20:21]                                   // 0000000105D4: BEFE0114
	global_atomic_add_f32 v6, v150, s[8:9] offset:8            // 0000000105D8: DD348008 00089606
	global_atomic_add_f32 v6, v154, s[8:9] offset:264          // 0000000105E0: DD348108 00089A06
	s_mov_b64 exec, s[36:37]                                   // 0000000105E8: BEFE0124
	v_mov_b32_e32 v6, v81                                      // 0000000105EC: 7E0C0351
	s_mov_b64 s[60:61], 0                                      // 0000000105F0: BEBC0180
	v_readlane_b32 s82, v3, 34                                 // 0000000105F4: D2890052 00014503
	s_and_b32 s82, s82, 0xffffff                               // 0000000105FC: 8652FF52 00FFFFFF
	s_cmp_lt_u32 s82, s66                                      // 000000010604: BF0A4252
	s_cselect_b32 s20, s36, s60                                // 000000010608: 85143C24
	v_readlane_b32 s82, v3, 35                                 // 00000001060C: D2890052 00014703
	s_and_b32 s82, s82, 0xffffff                               // 000000010614: 8652FF52 00FFFFFF
	s_cmp_lt_u32 s82, s66                                      // 00000001061C: BF0A4252
	s_cselect_b32 s21, s36, s60                                // 000000010620: 85153C24
	s_mov_b64 exec, s[20:21]                                   // 000000010624: BEFE0114
	global_atomic_add_f32 v6, v151, s[8:9] offset:8            // 000000010628: DD348008 00089706
	global_atomic_add_f32 v6, v155, s[8:9] offset:264          // 000000010630: DD348108 00089B06
	s_mov_b64 exec, s[36:37]                                   // 000000010638: BEFE0124
	ds_write_b64 v20, v[156:157]                               // 00000001063C: D89A0000 00009C14
	ds_write_b64 v20, v[160:161] offset:4352                   // 000000010644: D89A1100 0000A014
	ds_write_b64 v20, v[164:165] offset:8704                   // 00000001064C: D89A2200 0000A414
	ds_write_b64 v20, v[168:169] offset:13056                  // 000000010654: D89A3300 0000A814
	ds_write_b64 v20, v[172:173] offset:17408                  // 00000001065C: D89A4400 0000AC14
	ds_write_b64 v20, v[176:177] offset:21760                  // 000000010664: D89A5500 0000B014
	ds_write_b64 v20, v[180:181] offset:26112                  // 00000001066C: D89A6600 0000B414
	ds_write_b64 v20, v[184:185] offset:30464                  // 000000010674: D89A7700 0000B814
	ds_write_b64 v20, v[188:189] offset:34816                  // 00000001067C: D89A8800 0000BC14
	ds_write_b64 v20, v[192:193] offset:2176                   // 000000010684: D89A0880 0000C014
	ds_write_b64 v20, v[196:197] offset:6528                   // 00000001068C: D89A1980 0000C414
	ds_write_b64 v20, v[200:201] offset:10880                  // 000000010694: D89A2A80 0000C814
	ds_write_b64 v20, v[204:205] offset:15232                  // 00000001069C: D89A3B80 0000CC14
	ds_write_b64 v20, v[208:209] offset:19584                  // 0000000106A4: D89A4C80 0000D014
	ds_write_b64 v20, v[212:213] offset:23936                  // 0000000106AC: D89A5D80 0000D414
	ds_write_b64 v20, v[216:217] offset:28288                  // 0000000106B4: D89A6E80 0000D814
	ds_write_b64 v20, v[220:221] offset:32640                  // 0000000106BC: D89A7F80 0000DC14
	ds_write_b64 v20, v[224:225] offset:36992                  // 0000000106C4: D89A9080 0000E014
	s_waitcnt lgkmcnt(0)                                       // 0000000106CC: BF8CC07F
	s_barrier                                                  // 0000000106D0: BF8A0000
	ds_read_b32 v156, v21                                      // 0000000106D4: D86C0000 9C000015
	ds_read_b32 v157, v21 offset:64                            // 0000000106DC: D86C0040 9D000015
	ds_read_b32 v160, v21 offset:2176                          // 0000000106E4: D86C0880 A0000015
	ds_read_b32 v161, v21 offset:2240                          // 0000000106EC: D86C08C0 A1000015
	ds_read_b32 v164, v21 offset:4352                          // 0000000106F4: D86C1100 A4000015
	ds_read_b32 v165, v21 offset:4416                          // 0000000106FC: D86C1140 A5000015
	ds_read_b32 v168, v21 offset:6528                          // 000000010704: D86C1980 A8000015
	ds_read_b32 v169, v21 offset:6592                          // 00000001070C: D86C19C0 A9000015
	ds_read_b32 v172, v21 offset:8704                          // 000000010714: D86C2200 AC000015
	ds_read_b32 v173, v21 offset:8768                          // 00000001071C: D86C2240 AD000015
	ds_read_b32 v176, v21 offset:10880                         // 000000010724: D86C2A80 B0000015
	ds_read_b32 v177, v21 offset:10944                         // 00000001072C: D86C2AC0 B1000015
	ds_read_b32 v180, v21 offset:13056                         // 000000010734: D86C3300 B4000015
	ds_read_b32 v181, v21 offset:13120                         // 00000001073C: D86C3340 B5000015
	ds_read_b32 v184, v21 offset:15232                         // 000000010744: D86C3B80 B8000015
	ds_read_b32 v185, v21 offset:15296                         // 00000001074C: D86C3BC0 B9000015
	ds_read_b32 v188, v21 offset:17408                         // 000000010754: D86C4400 BC000015
	ds_read_b32 v189, v21 offset:17472                         // 00000001075C: D86C4440 BD000015
	ds_read_b32 v192, v21 offset:19584                         // 000000010764: D86C4C80 C0000015
	ds_read_b32 v193, v21 offset:19648                         // 00000001076C: D86C4CC0 C1000015
	ds_read_b32 v196, v21 offset:21760                         // 000000010774: D86C5500 C4000015
	ds_read_b32 v197, v21 offset:21824                         // 00000001077C: D86C5540 C5000015
	ds_read_b32 v200, v21 offset:23936                         // 000000010784: D86C5D80 C8000015
	ds_read_b32 v201, v21 offset:24000                         // 00000001078C: D86C5DC0 C9000015
	ds_read_b32 v204, v21 offset:26112                         // 000000010794: D86C6600 CC000015
	ds_read_b32 v205, v21 offset:26176                         // 00000001079C: D86C6640 CD000015
	ds_read_b32 v208, v21 offset:28288                         // 0000000107A4: D86C6E80 D0000015
	ds_read_b32 v209, v21 offset:28352                         // 0000000107AC: D86C6EC0 D1000015
	ds_read_b32 v212, v21 offset:30464                         // 0000000107B4: D86C7700 D4000015
	ds_read_b32 v213, v21 offset:30528                         // 0000000107BC: D86C7740 D5000015
	ds_read_b32 v216, v21 offset:32640                         // 0000000107C4: D86C7F80 D8000015
	ds_read_b32 v217, v21 offset:32704                         // 0000000107CC: D86C7FC0 D9000015
	ds_read_b32 v220, v21 offset:34816                         // 0000000107D4: D86C8800 DC000015
	ds_read_b32 v221, v21 offset:34880                         // 0000000107DC: D86C8840 DD000015
	ds_read_b32 v224, v21 offset:36992                         // 0000000107E4: D86C9080 E0000015
	ds_read_b32 v225, v21 offset:37056                         // 0000000107EC: D86C90C0 E1000015
	s_mul_i32 s60, s65, 4                                      // 0000000107F4: 923C8441
	s_add_u32 s8, s60, s8                                      // 0000000107F8: 8008083C
	s_addc_u32 s9, 0, s9                                       // 0000000107FC: 82090980
	s_waitcnt lgkmcnt(0)                                       // 000000010800: BF8CC07F
	v_mov_b32_e32 v7, 0                                        // 000000010804: 7E0E0280
	s_mov_b64 exec, s[36:37]                                   // 000000010808: BEFE0124
	v_mov_b32_e32 v6, v64                                      // 00000001080C: 7E0C0340
	s_mov_b64 s[60:61], 0                                      // 000000010810: BEBC0180
	v_readlane_b32 s82, v3, 0                                  // 000000010814: D2890052 00010103
	s_and_b32 s82, s82, 0xffffff                               // 00000001081C: 8652FF52 00FFFFFF
	s_cmp_lt_u32 s82, s66                                      // 000000010824: BF0A4252
	s_cselect_b32 s20, s36, s60                                // 000000010828: 85143C24
	v_readlane_b32 s82, v3, 1                                  // 00000001082C: D2890052 00010303
	s_and_b32 s82, s82, 0xffffff                               // 000000010834: 8652FF52 00FFFFFF
	s_cmp_lt_u32 s82, s66                                      // 00000001083C: BF0A4252
	s_cselect_b32 s21, s36, s60                                // 000000010840: 85153C24
	s_mov_b64 exec, s[20:21]                                   // 000000010844: BEFE0114
	global_atomic_add_f32 v6, v156, s[8:9]                     // 000000010848: DD348000 00089C06
	global_atomic_add_f32 v6, v160, s[8:9] offset:256          // 000000010850: DD348100 0008A006
	s_mov_b64 exec, s[36:37]                                   // 000000010858: BEFE0124
	v_mov_b32_e32 v6, v65                                      // 00000001085C: 7E0C0341
	s_mov_b64 s[60:61], 0                                      // 000000010860: BEBC0180
	v_readlane_b32 s82, v3, 2                                  // 000000010864: D2890052 00010503
	s_and_b32 s82, s82, 0xffffff                               // 00000001086C: 8652FF52 00FFFFFF
	s_cmp_lt_u32 s82, s66                                      // 000000010874: BF0A4252
	s_cselect_b32 s20, s36, s60                                // 000000010878: 85143C24
	v_readlane_b32 s82, v3, 3                                  // 00000001087C: D2890052 00010703
	s_and_b32 s82, s82, 0xffffff                               // 000000010884: 8652FF52 00FFFFFF
	s_cmp_lt_u32 s82, s66                                      // 00000001088C: BF0A4252
	s_cselect_b32 s21, s36, s60                                // 000000010890: 85153C24
	s_mov_b64 exec, s[20:21]                                   // 000000010894: BEFE0114
	global_atomic_add_f32 v6, v157, s[8:9]                     // 000000010898: DD348000 00089D06
	global_atomic_add_f32 v6, v161, s[8:9] offset:256          // 0000000108A0: DD348100 0008A106
	s_mov_b64 exec, s[36:37]                                   // 0000000108A8: BEFE0124
	v_mov_b32_e32 v6, v66                                      // 0000000108AC: 7E0C0342
	s_mov_b64 s[60:61], 0                                      // 0000000108B0: BEBC0180
	v_readlane_b32 s82, v3, 4                                  // 0000000108B4: D2890052 00010903
	s_and_b32 s82, s82, 0xffffff                               // 0000000108BC: 8652FF52 00FFFFFF
	s_cmp_lt_u32 s82, s66                                      // 0000000108C4: BF0A4252
	s_cselect_b32 s20, s36, s60                                // 0000000108C8: 85143C24
	v_readlane_b32 s82, v3, 5                                  // 0000000108CC: D2890052 00010B03
	s_and_b32 s82, s82, 0xffffff                               // 0000000108D4: 8652FF52 00FFFFFF
	s_cmp_lt_u32 s82, s66                                      // 0000000108DC: BF0A4252
	s_cselect_b32 s21, s36, s60                                // 0000000108E0: 85153C24
	s_mov_b64 exec, s[20:21]                                   // 0000000108E4: BEFE0114
	global_atomic_add_f32 v6, v164, s[8:9]                     // 0000000108E8: DD348000 0008A406
	global_atomic_add_f32 v6, v168, s[8:9] offset:256          // 0000000108F0: DD348100 0008A806
	s_mov_b64 exec, s[36:37]                                   // 0000000108F8: BEFE0124
	v_mov_b32_e32 v6, v67                                      // 0000000108FC: 7E0C0343
	s_mov_b64 s[60:61], 0                                      // 000000010900: BEBC0180
	v_readlane_b32 s82, v3, 6                                  // 000000010904: D2890052 00010D03
	s_and_b32 s82, s82, 0xffffff                               // 00000001090C: 8652FF52 00FFFFFF
	s_cmp_lt_u32 s82, s66                                      // 000000010914: BF0A4252
	s_cselect_b32 s20, s36, s60                                // 000000010918: 85143C24
	v_readlane_b32 s82, v3, 7                                  // 00000001091C: D2890052 00010F03
	s_and_b32 s82, s82, 0xffffff                               // 000000010924: 8652FF52 00FFFFFF
	s_cmp_lt_u32 s82, s66                                      // 00000001092C: BF0A4252
	s_cselect_b32 s21, s36, s60                                // 000000010930: 85153C24
	s_mov_b64 exec, s[20:21]                                   // 000000010934: BEFE0114
	global_atomic_add_f32 v6, v165, s[8:9]                     // 000000010938: DD348000 0008A506
	global_atomic_add_f32 v6, v169, s[8:9] offset:256          // 000000010940: DD348100 0008A906
	s_mov_b64 exec, s[36:37]                                   // 000000010948: BEFE0124
	v_mov_b32_e32 v6, v68                                      // 00000001094C: 7E0C0344
	s_mov_b64 s[60:61], 0                                      // 000000010950: BEBC0180
	v_readlane_b32 s82, v3, 8                                  // 000000010954: D2890052 00011103
	s_and_b32 s82, s82, 0xffffff                               // 00000001095C: 8652FF52 00FFFFFF
	s_cmp_lt_u32 s82, s66                                      // 000000010964: BF0A4252
	s_cselect_b32 s20, s36, s60                                // 000000010968: 85143C24
	v_readlane_b32 s82, v3, 9                                  // 00000001096C: D2890052 00011303
	s_and_b32 s82, s82, 0xffffff                               // 000000010974: 8652FF52 00FFFFFF
	s_cmp_lt_u32 s82, s66                                      // 00000001097C: BF0A4252
	s_cselect_b32 s21, s36, s60                                // 000000010980: 85153C24
	s_mov_b64 exec, s[20:21]                                   // 000000010984: BEFE0114
	global_atomic_add_f32 v6, v172, s[8:9]                     // 000000010988: DD348000 0008AC06
	global_atomic_add_f32 v6, v176, s[8:9] offset:256          // 000000010990: DD348100 0008B006
	s_mov_b64 exec, s[36:37]                                   // 000000010998: BEFE0124
	v_mov_b32_e32 v6, v69                                      // 00000001099C: 7E0C0345
	s_mov_b64 s[60:61], 0                                      // 0000000109A0: BEBC0180
	v_readlane_b32 s82, v3, 10                                 // 0000000109A4: D2890052 00011503
	s_and_b32 s82, s82, 0xffffff                               // 0000000109AC: 8652FF52 00FFFFFF
	s_cmp_lt_u32 s82, s66                                      // 0000000109B4: BF0A4252
	s_cselect_b32 s20, s36, s60                                // 0000000109B8: 85143C24
	v_readlane_b32 s82, v3, 11                                 // 0000000109BC: D2890052 00011703
	s_and_b32 s82, s82, 0xffffff                               // 0000000109C4: 8652FF52 00FFFFFF
	s_cmp_lt_u32 s82, s66                                      // 0000000109CC: BF0A4252
	s_cselect_b32 s21, s36, s60                                // 0000000109D0: 85153C24
	s_mov_b64 exec, s[20:21]                                   // 0000000109D4: BEFE0114
	global_atomic_add_f32 v6, v173, s[8:9]                     // 0000000109D8: DD348000 0008AD06
	global_atomic_add_f32 v6, v177, s[8:9] offset:256          // 0000000109E0: DD348100 0008B106
	s_mov_b64 exec, s[36:37]                                   // 0000000109E8: BEFE0124
	v_mov_b32_e32 v6, v70                                      // 0000000109EC: 7E0C0346
	s_mov_b64 s[60:61], 0                                      // 0000000109F0: BEBC0180
	v_readlane_b32 s82, v3, 12                                 // 0000000109F4: D2890052 00011903
	s_and_b32 s82, s82, 0xffffff                               // 0000000109FC: 8652FF52 00FFFFFF
	s_cmp_lt_u32 s82, s66                                      // 000000010A04: BF0A4252
	s_cselect_b32 s20, s36, s60                                // 000000010A08: 85143C24
	v_readlane_b32 s82, v3, 13                                 // 000000010A0C: D2890052 00011B03
	s_and_b32 s82, s82, 0xffffff                               // 000000010A14: 8652FF52 00FFFFFF
	s_cmp_lt_u32 s82, s66                                      // 000000010A1C: BF0A4252
	s_cselect_b32 s21, s36, s60                                // 000000010A20: 85153C24
	s_mov_b64 exec, s[20:21]                                   // 000000010A24: BEFE0114
	global_atomic_add_f32 v6, v180, s[8:9]                     // 000000010A28: DD348000 0008B406
	global_atomic_add_f32 v6, v184, s[8:9] offset:256          // 000000010A30: DD348100 0008B806
	s_mov_b64 exec, s[36:37]                                   // 000000010A38: BEFE0124
	v_mov_b32_e32 v6, v71                                      // 000000010A3C: 7E0C0347
	s_mov_b64 s[60:61], 0                                      // 000000010A40: BEBC0180
	v_readlane_b32 s82, v3, 14                                 // 000000010A44: D2890052 00011D03
	s_and_b32 s82, s82, 0xffffff                               // 000000010A4C: 8652FF52 00FFFFFF
	s_cmp_lt_u32 s82, s66                                      // 000000010A54: BF0A4252
	s_cselect_b32 s20, s36, s60                                // 000000010A58: 85143C24
	v_readlane_b32 s82, v3, 15                                 // 000000010A5C: D2890052 00011F03
	s_and_b32 s82, s82, 0xffffff                               // 000000010A64: 8652FF52 00FFFFFF
	s_cmp_lt_u32 s82, s66                                      // 000000010A6C: BF0A4252
	s_cselect_b32 s21, s36, s60                                // 000000010A70: 85153C24
	s_mov_b64 exec, s[20:21]                                   // 000000010A74: BEFE0114
	global_atomic_add_f32 v6, v181, s[8:9]                     // 000000010A78: DD348000 0008B506
	global_atomic_add_f32 v6, v185, s[8:9] offset:256          // 000000010A80: DD348100 0008B906
	s_mov_b64 exec, s[36:37]                                   // 000000010A88: BEFE0124
	v_mov_b32_e32 v6, v72                                      // 000000010A8C: 7E0C0348
	s_mov_b64 s[60:61], 0                                      // 000000010A90: BEBC0180
	v_readlane_b32 s82, v3, 16                                 // 000000010A94: D2890052 00012103
	s_and_b32 s82, s82, 0xffffff                               // 000000010A9C: 8652FF52 00FFFFFF
	s_cmp_lt_u32 s82, s66                                      // 000000010AA4: BF0A4252
	s_cselect_b32 s20, s36, s60                                // 000000010AA8: 85143C24
	v_readlane_b32 s82, v3, 17                                 // 000000010AAC: D2890052 00012303
	s_and_b32 s82, s82, 0xffffff                               // 000000010AB4: 8652FF52 00FFFFFF
	s_cmp_lt_u32 s82, s66                                      // 000000010ABC: BF0A4252
	s_cselect_b32 s21, s36, s60                                // 000000010AC0: 85153C24
	s_mov_b64 exec, s[20:21]                                   // 000000010AC4: BEFE0114
	global_atomic_add_f32 v6, v188, s[8:9]                     // 000000010AC8: DD348000 0008BC06
	global_atomic_add_f32 v6, v192, s[8:9] offset:256          // 000000010AD0: DD348100 0008C006
	s_mov_b64 exec, s[36:37]                                   // 000000010AD8: BEFE0124
	v_mov_b32_e32 v6, v73                                      // 000000010ADC: 7E0C0349
	s_mov_b64 s[60:61], 0                                      // 000000010AE0: BEBC0180
	v_readlane_b32 s82, v3, 18                                 // 000000010AE4: D2890052 00012503
	s_and_b32 s82, s82, 0xffffff                               // 000000010AEC: 8652FF52 00FFFFFF
	s_cmp_lt_u32 s82, s66                                      // 000000010AF4: BF0A4252
	s_cselect_b32 s20, s36, s60                                // 000000010AF8: 85143C24
	v_readlane_b32 s82, v3, 19                                 // 000000010AFC: D2890052 00012703
	s_and_b32 s82, s82, 0xffffff                               // 000000010B04: 8652FF52 00FFFFFF
	s_cmp_lt_u32 s82, s66                                      // 000000010B0C: BF0A4252
	s_cselect_b32 s21, s36, s60                                // 000000010B10: 85153C24
	s_mov_b64 exec, s[20:21]                                   // 000000010B14: BEFE0114
	global_atomic_add_f32 v6, v189, s[8:9]                     // 000000010B18: DD348000 0008BD06
	global_atomic_add_f32 v6, v193, s[8:9] offset:256          // 000000010B20: DD348100 0008C106
	s_mov_b64 exec, s[36:37]                                   // 000000010B28: BEFE0124
	v_mov_b32_e32 v6, v74                                      // 000000010B2C: 7E0C034A
	s_mov_b64 s[60:61], 0                                      // 000000010B30: BEBC0180
	v_readlane_b32 s82, v3, 20                                 // 000000010B34: D2890052 00012903
	s_and_b32 s82, s82, 0xffffff                               // 000000010B3C: 8652FF52 00FFFFFF
	s_cmp_lt_u32 s82, s66                                      // 000000010B44: BF0A4252
	s_cselect_b32 s20, s36, s60                                // 000000010B48: 85143C24
	v_readlane_b32 s82, v3, 21                                 // 000000010B4C: D2890052 00012B03
	s_and_b32 s82, s82, 0xffffff                               // 000000010B54: 8652FF52 00FFFFFF
	s_cmp_lt_u32 s82, s66                                      // 000000010B5C: BF0A4252
	s_cselect_b32 s21, s36, s60                                // 000000010B60: 85153C24
	s_mov_b64 exec, s[20:21]                                   // 000000010B64: BEFE0114
	global_atomic_add_f32 v6, v196, s[8:9]                     // 000000010B68: DD348000 0008C406
	global_atomic_add_f32 v6, v200, s[8:9] offset:256          // 000000010B70: DD348100 0008C806
	s_mov_b64 exec, s[36:37]                                   // 000000010B78: BEFE0124
	v_mov_b32_e32 v6, v75                                      // 000000010B7C: 7E0C034B
	s_mov_b64 s[60:61], 0                                      // 000000010B80: BEBC0180
	v_readlane_b32 s82, v3, 22                                 // 000000010B84: D2890052 00012D03
	s_and_b32 s82, s82, 0xffffff                               // 000000010B8C: 8652FF52 00FFFFFF
	s_cmp_lt_u32 s82, s66                                      // 000000010B94: BF0A4252
	s_cselect_b32 s20, s36, s60                                // 000000010B98: 85143C24
	v_readlane_b32 s82, v3, 23                                 // 000000010B9C: D2890052 00012F03
	s_and_b32 s82, s82, 0xffffff                               // 000000010BA4: 8652FF52 00FFFFFF
	s_cmp_lt_u32 s82, s66                                      // 000000010BAC: BF0A4252
	s_cselect_b32 s21, s36, s60                                // 000000010BB0: 85153C24
	s_mov_b64 exec, s[20:21]                                   // 000000010BB4: BEFE0114
	global_atomic_add_f32 v6, v197, s[8:9]                     // 000000010BB8: DD348000 0008C506
	global_atomic_add_f32 v6, v201, s[8:9] offset:256          // 000000010BC0: DD348100 0008C906
	s_mov_b64 exec, s[36:37]                                   // 000000010BC8: BEFE0124
	v_mov_b32_e32 v6, v76                                      // 000000010BCC: 7E0C034C
	s_mov_b64 s[60:61], 0                                      // 000000010BD0: BEBC0180
	v_readlane_b32 s82, v3, 24                                 // 000000010BD4: D2890052 00013103
	s_and_b32 s82, s82, 0xffffff                               // 000000010BDC: 8652FF52 00FFFFFF
	s_cmp_lt_u32 s82, s66                                      // 000000010BE4: BF0A4252
	s_cselect_b32 s20, s36, s60                                // 000000010BE8: 85143C24
	v_readlane_b32 s82, v3, 25                                 // 000000010BEC: D2890052 00013303
	s_and_b32 s82, s82, 0xffffff                               // 000000010BF4: 8652FF52 00FFFFFF
	s_cmp_lt_u32 s82, s66                                      // 000000010BFC: BF0A4252
	s_cselect_b32 s21, s36, s60                                // 000000010C00: 85153C24
	s_mov_b64 exec, s[20:21]                                   // 000000010C04: BEFE0114
	global_atomic_add_f32 v6, v204, s[8:9]                     // 000000010C08: DD348000 0008CC06
	global_atomic_add_f32 v6, v208, s[8:9] offset:256          // 000000010C10: DD348100 0008D006
	s_mov_b64 exec, s[36:37]                                   // 000000010C18: BEFE0124
	v_mov_b32_e32 v6, v77                                      // 000000010C1C: 7E0C034D
	s_mov_b64 s[60:61], 0                                      // 000000010C20: BEBC0180
	v_readlane_b32 s82, v3, 26                                 // 000000010C24: D2890052 00013503
	s_and_b32 s82, s82, 0xffffff                               // 000000010C2C: 8652FF52 00FFFFFF
	s_cmp_lt_u32 s82, s66                                      // 000000010C34: BF0A4252
	s_cselect_b32 s20, s36, s60                                // 000000010C38: 85143C24
	v_readlane_b32 s82, v3, 27                                 // 000000010C3C: D2890052 00013703
	s_and_b32 s82, s82, 0xffffff                               // 000000010C44: 8652FF52 00FFFFFF
	s_cmp_lt_u32 s82, s66                                      // 000000010C4C: BF0A4252
	s_cselect_b32 s21, s36, s60                                // 000000010C50: 85153C24
	s_mov_b64 exec, s[20:21]                                   // 000000010C54: BEFE0114
	global_atomic_add_f32 v6, v205, s[8:9]                     // 000000010C58: DD348000 0008CD06
	global_atomic_add_f32 v6, v209, s[8:9] offset:256          // 000000010C60: DD348100 0008D106
	s_mov_b64 exec, s[36:37]                                   // 000000010C68: BEFE0124
	v_mov_b32_e32 v6, v78                                      // 000000010C6C: 7E0C034E
	s_mov_b64 s[60:61], 0                                      // 000000010C70: BEBC0180
	v_readlane_b32 s82, v3, 28                                 // 000000010C74: D2890052 00013903
	s_and_b32 s82, s82, 0xffffff                               // 000000010C7C: 8652FF52 00FFFFFF
	s_cmp_lt_u32 s82, s66                                      // 000000010C84: BF0A4252
	s_cselect_b32 s20, s36, s60                                // 000000010C88: 85143C24
	v_readlane_b32 s82, v3, 29                                 // 000000010C8C: D2890052 00013B03
	s_and_b32 s82, s82, 0xffffff                               // 000000010C94: 8652FF52 00FFFFFF
	s_cmp_lt_u32 s82, s66                                      // 000000010C9C: BF0A4252
	s_cselect_b32 s21, s36, s60                                // 000000010CA0: 85153C24
	s_mov_b64 exec, s[20:21]                                   // 000000010CA4: BEFE0114
	global_atomic_add_f32 v6, v212, s[8:9]                     // 000000010CA8: DD348000 0008D406
	global_atomic_add_f32 v6, v216, s[8:9] offset:256          // 000000010CB0: DD348100 0008D806
	s_mov_b64 exec, s[36:37]                                   // 000000010CB8: BEFE0124
	v_mov_b32_e32 v6, v79                                      // 000000010CBC: 7E0C034F
	s_mov_b64 s[60:61], 0                                      // 000000010CC0: BEBC0180
	v_readlane_b32 s82, v3, 30                                 // 000000010CC4: D2890052 00013D03
	s_and_b32 s82, s82, 0xffffff                               // 000000010CCC: 8652FF52 00FFFFFF
	s_cmp_lt_u32 s82, s66                                      // 000000010CD4: BF0A4252
	s_cselect_b32 s20, s36, s60                                // 000000010CD8: 85143C24
	v_readlane_b32 s82, v3, 31                                 // 000000010CDC: D2890052 00013F03
	s_and_b32 s82, s82, 0xffffff                               // 000000010CE4: 8652FF52 00FFFFFF
	s_cmp_lt_u32 s82, s66                                      // 000000010CEC: BF0A4252
	s_cselect_b32 s21, s36, s60                                // 000000010CF0: 85153C24
	s_mov_b64 exec, s[20:21]                                   // 000000010CF4: BEFE0114
	global_atomic_add_f32 v6, v213, s[8:9]                     // 000000010CF8: DD348000 0008D506
	global_atomic_add_f32 v6, v217, s[8:9] offset:256          // 000000010D00: DD348100 0008D906
	s_mov_b64 exec, s[36:37]                                   // 000000010D08: BEFE0124
	v_mov_b32_e32 v6, v80                                      // 000000010D0C: 7E0C0350
	s_mov_b64 s[60:61], 0                                      // 000000010D10: BEBC0180
	v_readlane_b32 s82, v3, 32                                 // 000000010D14: D2890052 00014103
	s_and_b32 s82, s82, 0xffffff                               // 000000010D1C: 8652FF52 00FFFFFF
	s_cmp_lt_u32 s82, s66                                      // 000000010D24: BF0A4252
	s_cselect_b32 s20, s36, s60                                // 000000010D28: 85143C24
	v_readlane_b32 s82, v3, 33                                 // 000000010D2C: D2890052 00014303
	s_and_b32 s82, s82, 0xffffff                               // 000000010D34: 8652FF52 00FFFFFF
	s_cmp_lt_u32 s82, s66                                      // 000000010D3C: BF0A4252
	s_cselect_b32 s21, s36, s60                                // 000000010D40: 85153C24
	s_mov_b64 exec, s[20:21]                                   // 000000010D44: BEFE0114
	global_atomic_add_f32 v6, v220, s[8:9]                     // 000000010D48: DD348000 0008DC06
	global_atomic_add_f32 v6, v224, s[8:9] offset:256          // 000000010D50: DD348100 0008E006
	s_mov_b64 exec, s[36:37]                                   // 000000010D58: BEFE0124
	v_mov_b32_e32 v6, v81                                      // 000000010D5C: 7E0C0351
	s_mov_b64 s[60:61], 0                                      // 000000010D60: BEBC0180
	v_readlane_b32 s82, v3, 34                                 // 000000010D64: D2890052 00014503
	s_and_b32 s82, s82, 0xffffff                               // 000000010D6C: 8652FF52 00FFFFFF
	s_cmp_lt_u32 s82, s66                                      // 000000010D74: BF0A4252
	s_cselect_b32 s20, s36, s60                                // 000000010D78: 85143C24
	v_readlane_b32 s82, v3, 35                                 // 000000010D7C: D2890052 00014703
	s_and_b32 s82, s82, 0xffffff                               // 000000010D84: 8652FF52 00FFFFFF
	s_cmp_lt_u32 s82, s66                                      // 000000010D8C: BF0A4252
	s_cselect_b32 s21, s36, s60                                // 000000010D90: 85153C24
	s_mov_b64 exec, s[20:21]                                   // 000000010D94: BEFE0114
	global_atomic_add_f32 v6, v221, s[8:9]                     // 000000010D98: DD348000 0008DD06
	global_atomic_add_f32 v6, v225, s[8:9] offset:256          // 000000010DA0: DD348100 0008E106
	s_mov_b64 exec, s[36:37]                                   // 000000010DA8: BEFE0124
	ds_write_b64 v20, v[158:159]                               // 000000010DAC: D89A0000 00009E14
	ds_write_b64 v20, v[162:163] offset:4352                   // 000000010DB4: D89A1100 0000A214
	ds_write_b64 v20, v[166:167] offset:8704                   // 000000010DBC: D89A2200 0000A614
	ds_write_b64 v20, v[170:171] offset:13056                  // 000000010DC4: D89A3300 0000AA14
	ds_write_b64 v20, v[174:175] offset:17408                  // 000000010DCC: D89A4400 0000AE14
	ds_write_b64 v20, v[178:179] offset:21760                  // 000000010DD4: D89A5500 0000B214
	ds_write_b64 v20, v[182:183] offset:26112                  // 000000010DDC: D89A6600 0000B614
	ds_write_b64 v20, v[186:187] offset:30464                  // 000000010DE4: D89A7700 0000BA14
	ds_write_b64 v20, v[190:191] offset:34816                  // 000000010DEC: D89A8800 0000BE14
	ds_write_b64 v20, v[194:195] offset:2176                   // 000000010DF4: D89A0880 0000C214
	ds_write_b64 v20, v[198:199] offset:6528                   // 000000010DFC: D89A1980 0000C614
	ds_write_b64 v20, v[202:203] offset:10880                  // 000000010E04: D89A2A80 0000CA14
	ds_write_b64 v20, v[206:207] offset:15232                  // 000000010E0C: D89A3B80 0000CE14
	ds_write_b64 v20, v[210:211] offset:19584                  // 000000010E14: D89A4C80 0000D214
	ds_write_b64 v20, v[214:215] offset:23936                  // 000000010E1C: D89A5D80 0000D614
	ds_write_b64 v20, v[218:219] offset:28288                  // 000000010E24: D89A6E80 0000DA14
	ds_write_b64 v20, v[222:223] offset:32640                  // 000000010E2C: D89A7F80 0000DE14
	ds_write_b64 v20, v[226:227] offset:36992                  // 000000010E34: D89A9080 0000E214
	s_waitcnt lgkmcnt(0)                                       // 000000010E3C: BF8CC07F
	s_barrier                                                  // 000000010E40: BF8A0000
	ds_read_b32 v158, v21                                      // 000000010E44: D86C0000 9E000015
	ds_read_b32 v159, v21 offset:64                            // 000000010E4C: D86C0040 9F000015
	ds_read_b32 v162, v21 offset:2176                          // 000000010E54: D86C0880 A2000015
	ds_read_b32 v163, v21 offset:2240                          // 000000010E5C: D86C08C0 A3000015
	ds_read_b32 v166, v21 offset:4352                          // 000000010E64: D86C1100 A6000015
	ds_read_b32 v167, v21 offset:4416                          // 000000010E6C: D86C1140 A7000015
	ds_read_b32 v170, v21 offset:6528                          // 000000010E74: D86C1980 AA000015
	ds_read_b32 v171, v21 offset:6592                          // 000000010E7C: D86C19C0 AB000015
	ds_read_b32 v174, v21 offset:8704                          // 000000010E84: D86C2200 AE000015
	ds_read_b32 v175, v21 offset:8768                          // 000000010E8C: D86C2240 AF000015
	ds_read_b32 v178, v21 offset:10880                         // 000000010E94: D86C2A80 B2000015
	ds_read_b32 v179, v21 offset:10944                         // 000000010E9C: D86C2AC0 B3000015
	ds_read_b32 v182, v21 offset:13056                         // 000000010EA4: D86C3300 B6000015
	ds_read_b32 v183, v21 offset:13120                         // 000000010EAC: D86C3340 B7000015
	ds_read_b32 v186, v21 offset:15232                         // 000000010EB4: D86C3B80 BA000015
	ds_read_b32 v187, v21 offset:15296                         // 000000010EBC: D86C3BC0 BB000015
	ds_read_b32 v190, v21 offset:17408                         // 000000010EC4: D86C4400 BE000015
	ds_read_b32 v191, v21 offset:17472                         // 000000010ECC: D86C4440 BF000015
	ds_read_b32 v194, v21 offset:19584                         // 000000010ED4: D86C4C80 C2000015
	ds_read_b32 v195, v21 offset:19648                         // 000000010EDC: D86C4CC0 C3000015
	ds_read_b32 v198, v21 offset:21760                         // 000000010EE4: D86C5500 C6000015
	ds_read_b32 v199, v21 offset:21824                         // 000000010EEC: D86C5540 C7000015
	ds_read_b32 v202, v21 offset:23936                         // 000000010EF4: D86C5D80 CA000015
	ds_read_b32 v203, v21 offset:24000                         // 000000010EFC: D86C5DC0 CB000015
	ds_read_b32 v206, v21 offset:26112                         // 000000010F04: D86C6600 CE000015
	ds_read_b32 v207, v21 offset:26176                         // 000000010F0C: D86C6640 CF000015
	ds_read_b32 v210, v21 offset:28288                         // 000000010F14: D86C6E80 D2000015
	ds_read_b32 v211, v21 offset:28352                         // 000000010F1C: D86C6EC0 D3000015
	ds_read_b32 v214, v21 offset:30464                         // 000000010F24: D86C7700 D6000015
	ds_read_b32 v215, v21 offset:30528                         // 000000010F2C: D86C7740 D7000015
	ds_read_b32 v218, v21 offset:32640                         // 000000010F34: D86C7F80 DA000015
	ds_read_b32 v219, v21 offset:32704                         // 000000010F3C: D86C7FC0 DB000015
	ds_read_b32 v222, v21 offset:34816                         // 000000010F44: D86C8800 DE000015
	ds_read_b32 v223, v21 offset:34880                         // 000000010F4C: D86C8840 DF000015
	ds_read_b32 v226, v21 offset:36992                         // 000000010F54: D86C9080 E2000015
	ds_read_b32 v227, v21 offset:37056                         // 000000010F5C: D86C90C0 E3000015
	s_waitcnt lgkmcnt(0)                                       // 000000010F64: BF8CC07F
	v_mov_b32_e32 v7, 0                                        // 000000010F68: 7E0E0280
	s_mov_b64 exec, s[36:37]                                   // 000000010F6C: BEFE0124
	v_mov_b32_e32 v6, v64                                      // 000000010F70: 7E0C0340
	s_mov_b64 s[60:61], 0                                      // 000000010F74: BEBC0180
	v_readlane_b32 s82, v3, 0                                  // 000000010F78: D2890052 00010103
	s_and_b32 s82, s82, 0xffffff                               // 000000010F80: 8652FF52 00FFFFFF
	s_cmp_lt_u32 s82, s66                                      // 000000010F88: BF0A4252
	s_cselect_b32 s20, s36, s60                                // 000000010F8C: 85143C24
	v_readlane_b32 s82, v3, 1                                  // 000000010F90: D2890052 00010303
	s_and_b32 s82, s82, 0xffffff                               // 000000010F98: 8652FF52 00FFFFFF
	s_cmp_lt_u32 s82, s66                                      // 000000010FA0: BF0A4252
	s_cselect_b32 s21, s36, s60                                // 000000010FA4: 85153C24
	s_mov_b64 exec, s[20:21]                                   // 000000010FA8: BEFE0114
	global_atomic_add_f32 v6, v158, s[8:9] offset:8            // 000000010FAC: DD348008 00089E06
	global_atomic_add_f32 v6, v162, s[8:9] offset:264          // 000000010FB4: DD348108 0008A206
	s_mov_b64 exec, s[36:37]                                   // 000000010FBC: BEFE0124
	v_mov_b32_e32 v6, v65                                      // 000000010FC0: 7E0C0341
	s_mov_b64 s[60:61], 0                                      // 000000010FC4: BEBC0180
	v_readlane_b32 s82, v3, 2                                  // 000000010FC8: D2890052 00010503
	s_and_b32 s82, s82, 0xffffff                               // 000000010FD0: 8652FF52 00FFFFFF
	s_cmp_lt_u32 s82, s66                                      // 000000010FD8: BF0A4252
	s_cselect_b32 s20, s36, s60                                // 000000010FDC: 85143C24
	v_readlane_b32 s82, v3, 3                                  // 000000010FE0: D2890052 00010703
	s_and_b32 s82, s82, 0xffffff                               // 000000010FE8: 8652FF52 00FFFFFF
	s_cmp_lt_u32 s82, s66                                      // 000000010FF0: BF0A4252
	s_cselect_b32 s21, s36, s60                                // 000000010FF4: 85153C24
	s_mov_b64 exec, s[20:21]                                   // 000000010FF8: BEFE0114
	global_atomic_add_f32 v6, v159, s[8:9] offset:8            // 000000010FFC: DD348008 00089F06
	global_atomic_add_f32 v6, v163, s[8:9] offset:264          // 000000011004: DD348108 0008A306
	s_mov_b64 exec, s[36:37]                                   // 00000001100C: BEFE0124
	v_mov_b32_e32 v6, v66                                      // 000000011010: 7E0C0342
	s_mov_b64 s[60:61], 0                                      // 000000011014: BEBC0180
	v_readlane_b32 s82, v3, 4                                  // 000000011018: D2890052 00010903
	s_and_b32 s82, s82, 0xffffff                               // 000000011020: 8652FF52 00FFFFFF
	s_cmp_lt_u32 s82, s66                                      // 000000011028: BF0A4252
	s_cselect_b32 s20, s36, s60                                // 00000001102C: 85143C24
	v_readlane_b32 s82, v3, 5                                  // 000000011030: D2890052 00010B03
	s_and_b32 s82, s82, 0xffffff                               // 000000011038: 8652FF52 00FFFFFF
	s_cmp_lt_u32 s82, s66                                      // 000000011040: BF0A4252
	s_cselect_b32 s21, s36, s60                                // 000000011044: 85153C24
	s_mov_b64 exec, s[20:21]                                   // 000000011048: BEFE0114
	global_atomic_add_f32 v6, v166, s[8:9] offset:8            // 00000001104C: DD348008 0008A606
	global_atomic_add_f32 v6, v170, s[8:9] offset:264          // 000000011054: DD348108 0008AA06
	s_mov_b64 exec, s[36:37]                                   // 00000001105C: BEFE0124
	v_mov_b32_e32 v6, v67                                      // 000000011060: 7E0C0343
	s_mov_b64 s[60:61], 0                                      // 000000011064: BEBC0180
	v_readlane_b32 s82, v3, 6                                  // 000000011068: D2890052 00010D03
	s_and_b32 s82, s82, 0xffffff                               // 000000011070: 8652FF52 00FFFFFF
	s_cmp_lt_u32 s82, s66                                      // 000000011078: BF0A4252
	s_cselect_b32 s20, s36, s60                                // 00000001107C: 85143C24
	v_readlane_b32 s82, v3, 7                                  // 000000011080: D2890052 00010F03
	s_and_b32 s82, s82, 0xffffff                               // 000000011088: 8652FF52 00FFFFFF
	s_cmp_lt_u32 s82, s66                                      // 000000011090: BF0A4252
	s_cselect_b32 s21, s36, s60                                // 000000011094: 85153C24
	s_mov_b64 exec, s[20:21]                                   // 000000011098: BEFE0114
	global_atomic_add_f32 v6, v167, s[8:9] offset:8            // 00000001109C: DD348008 0008A706
	global_atomic_add_f32 v6, v171, s[8:9] offset:264          // 0000000110A4: DD348108 0008AB06
	s_mov_b64 exec, s[36:37]                                   // 0000000110AC: BEFE0124
	v_mov_b32_e32 v6, v68                                      // 0000000110B0: 7E0C0344
	s_mov_b64 s[60:61], 0                                      // 0000000110B4: BEBC0180
	v_readlane_b32 s82, v3, 8                                  // 0000000110B8: D2890052 00011103
	s_and_b32 s82, s82, 0xffffff                               // 0000000110C0: 8652FF52 00FFFFFF
	s_cmp_lt_u32 s82, s66                                      // 0000000110C8: BF0A4252
	s_cselect_b32 s20, s36, s60                                // 0000000110CC: 85143C24
	v_readlane_b32 s82, v3, 9                                  // 0000000110D0: D2890052 00011303
	s_and_b32 s82, s82, 0xffffff                               // 0000000110D8: 8652FF52 00FFFFFF
	s_cmp_lt_u32 s82, s66                                      // 0000000110E0: BF0A4252
	s_cselect_b32 s21, s36, s60                                // 0000000110E4: 85153C24
	s_mov_b64 exec, s[20:21]                                   // 0000000110E8: BEFE0114
	global_atomic_add_f32 v6, v174, s[8:9] offset:8            // 0000000110EC: DD348008 0008AE06
	global_atomic_add_f32 v6, v178, s[8:9] offset:264          // 0000000110F4: DD348108 0008B206
	s_mov_b64 exec, s[36:37]                                   // 0000000110FC: BEFE0124
	v_mov_b32_e32 v6, v69                                      // 000000011100: 7E0C0345
	s_mov_b64 s[60:61], 0                                      // 000000011104: BEBC0180
	v_readlane_b32 s82, v3, 10                                 // 000000011108: D2890052 00011503
	s_and_b32 s82, s82, 0xffffff                               // 000000011110: 8652FF52 00FFFFFF
	s_cmp_lt_u32 s82, s66                                      // 000000011118: BF0A4252
	s_cselect_b32 s20, s36, s60                                // 00000001111C: 85143C24
	v_readlane_b32 s82, v3, 11                                 // 000000011120: D2890052 00011703
	s_and_b32 s82, s82, 0xffffff                               // 000000011128: 8652FF52 00FFFFFF
	s_cmp_lt_u32 s82, s66                                      // 000000011130: BF0A4252
	s_cselect_b32 s21, s36, s60                                // 000000011134: 85153C24
	s_mov_b64 exec, s[20:21]                                   // 000000011138: BEFE0114
	global_atomic_add_f32 v6, v175, s[8:9] offset:8            // 00000001113C: DD348008 0008AF06
	global_atomic_add_f32 v6, v179, s[8:9] offset:264          // 000000011144: DD348108 0008B306
	s_mov_b64 exec, s[36:37]                                   // 00000001114C: BEFE0124
	v_mov_b32_e32 v6, v70                                      // 000000011150: 7E0C0346
	s_mov_b64 s[60:61], 0                                      // 000000011154: BEBC0180
	v_readlane_b32 s82, v3, 12                                 // 000000011158: D2890052 00011903
	s_and_b32 s82, s82, 0xffffff                               // 000000011160: 8652FF52 00FFFFFF
	s_cmp_lt_u32 s82, s66                                      // 000000011168: BF0A4252
	s_cselect_b32 s20, s36, s60                                // 00000001116C: 85143C24
	v_readlane_b32 s82, v3, 13                                 // 000000011170: D2890052 00011B03
	s_and_b32 s82, s82, 0xffffff                               // 000000011178: 8652FF52 00FFFFFF
	s_cmp_lt_u32 s82, s66                                      // 000000011180: BF0A4252
	s_cselect_b32 s21, s36, s60                                // 000000011184: 85153C24
	s_mov_b64 exec, s[20:21]                                   // 000000011188: BEFE0114
	global_atomic_add_f32 v6, v182, s[8:9] offset:8            // 00000001118C: DD348008 0008B606
	global_atomic_add_f32 v6, v186, s[8:9] offset:264          // 000000011194: DD348108 0008BA06
	s_mov_b64 exec, s[36:37]                                   // 00000001119C: BEFE0124
	v_mov_b32_e32 v6, v71                                      // 0000000111A0: 7E0C0347
	s_mov_b64 s[60:61], 0                                      // 0000000111A4: BEBC0180
	v_readlane_b32 s82, v3, 14                                 // 0000000111A8: D2890052 00011D03
	s_and_b32 s82, s82, 0xffffff                               // 0000000111B0: 8652FF52 00FFFFFF
	s_cmp_lt_u32 s82, s66                                      // 0000000111B8: BF0A4252
	s_cselect_b32 s20, s36, s60                                // 0000000111BC: 85143C24
	v_readlane_b32 s82, v3, 15                                 // 0000000111C0: D2890052 00011F03
	s_and_b32 s82, s82, 0xffffff                               // 0000000111C8: 8652FF52 00FFFFFF
	s_cmp_lt_u32 s82, s66                                      // 0000000111D0: BF0A4252
	s_cselect_b32 s21, s36, s60                                // 0000000111D4: 85153C24
	s_mov_b64 exec, s[20:21]                                   // 0000000111D8: BEFE0114
	global_atomic_add_f32 v6, v183, s[8:9] offset:8            // 0000000111DC: DD348008 0008B706
	global_atomic_add_f32 v6, v187, s[8:9] offset:264          // 0000000111E4: DD348108 0008BB06
	s_mov_b64 exec, s[36:37]                                   // 0000000111EC: BEFE0124
	v_mov_b32_e32 v6, v72                                      // 0000000111F0: 7E0C0348
	s_mov_b64 s[60:61], 0                                      // 0000000111F4: BEBC0180
	v_readlane_b32 s82, v3, 16                                 // 0000000111F8: D2890052 00012103
	s_and_b32 s82, s82, 0xffffff                               // 000000011200: 8652FF52 00FFFFFF
	s_cmp_lt_u32 s82, s66                                      // 000000011208: BF0A4252
	s_cselect_b32 s20, s36, s60                                // 00000001120C: 85143C24
	v_readlane_b32 s82, v3, 17                                 // 000000011210: D2890052 00012303
	s_and_b32 s82, s82, 0xffffff                               // 000000011218: 8652FF52 00FFFFFF
	s_cmp_lt_u32 s82, s66                                      // 000000011220: BF0A4252
	s_cselect_b32 s21, s36, s60                                // 000000011224: 85153C24
	s_mov_b64 exec, s[20:21]                                   // 000000011228: BEFE0114
	global_atomic_add_f32 v6, v190, s[8:9] offset:8            // 00000001122C: DD348008 0008BE06
	global_atomic_add_f32 v6, v194, s[8:9] offset:264          // 000000011234: DD348108 0008C206
	s_mov_b64 exec, s[36:37]                                   // 00000001123C: BEFE0124
	v_mov_b32_e32 v6, v73                                      // 000000011240: 7E0C0349
	s_mov_b64 s[60:61], 0                                      // 000000011244: BEBC0180
	v_readlane_b32 s82, v3, 18                                 // 000000011248: D2890052 00012503
	s_and_b32 s82, s82, 0xffffff                               // 000000011250: 8652FF52 00FFFFFF
	s_cmp_lt_u32 s82, s66                                      // 000000011258: BF0A4252
	s_cselect_b32 s20, s36, s60                                // 00000001125C: 85143C24
	v_readlane_b32 s82, v3, 19                                 // 000000011260: D2890052 00012703
	s_and_b32 s82, s82, 0xffffff                               // 000000011268: 8652FF52 00FFFFFF
	s_cmp_lt_u32 s82, s66                                      // 000000011270: BF0A4252
	s_cselect_b32 s21, s36, s60                                // 000000011274: 85153C24
	s_mov_b64 exec, s[20:21]                                   // 000000011278: BEFE0114
	global_atomic_add_f32 v6, v191, s[8:9] offset:8            // 00000001127C: DD348008 0008BF06
	global_atomic_add_f32 v6, v195, s[8:9] offset:264          // 000000011284: DD348108 0008C306
	s_mov_b64 exec, s[36:37]                                   // 00000001128C: BEFE0124
	v_mov_b32_e32 v6, v74                                      // 000000011290: 7E0C034A
	s_mov_b64 s[60:61], 0                                      // 000000011294: BEBC0180
	v_readlane_b32 s82, v3, 20                                 // 000000011298: D2890052 00012903
	s_and_b32 s82, s82, 0xffffff                               // 0000000112A0: 8652FF52 00FFFFFF
	s_cmp_lt_u32 s82, s66                                      // 0000000112A8: BF0A4252
	s_cselect_b32 s20, s36, s60                                // 0000000112AC: 85143C24
	v_readlane_b32 s82, v3, 21                                 // 0000000112B0: D2890052 00012B03
	s_and_b32 s82, s82, 0xffffff                               // 0000000112B8: 8652FF52 00FFFFFF
	s_cmp_lt_u32 s82, s66                                      // 0000000112C0: BF0A4252
	s_cselect_b32 s21, s36, s60                                // 0000000112C4: 85153C24
	s_mov_b64 exec, s[20:21]                                   // 0000000112C8: BEFE0114
	global_atomic_add_f32 v6, v198, s[8:9] offset:8            // 0000000112CC: DD348008 0008C606
	global_atomic_add_f32 v6, v202, s[8:9] offset:264          // 0000000112D4: DD348108 0008CA06
	s_mov_b64 exec, s[36:37]                                   // 0000000112DC: BEFE0124
	v_mov_b32_e32 v6, v75                                      // 0000000112E0: 7E0C034B
	s_mov_b64 s[60:61], 0                                      // 0000000112E4: BEBC0180
	v_readlane_b32 s82, v3, 22                                 // 0000000112E8: D2890052 00012D03
	s_and_b32 s82, s82, 0xffffff                               // 0000000112F0: 8652FF52 00FFFFFF
	s_cmp_lt_u32 s82, s66                                      // 0000000112F8: BF0A4252
	s_cselect_b32 s20, s36, s60                                // 0000000112FC: 85143C24
	v_readlane_b32 s82, v3, 23                                 // 000000011300: D2890052 00012F03
	s_and_b32 s82, s82, 0xffffff                               // 000000011308: 8652FF52 00FFFFFF
	s_cmp_lt_u32 s82, s66                                      // 000000011310: BF0A4252
	s_cselect_b32 s21, s36, s60                                // 000000011314: 85153C24
	s_mov_b64 exec, s[20:21]                                   // 000000011318: BEFE0114
	global_atomic_add_f32 v6, v199, s[8:9] offset:8            // 00000001131C: DD348008 0008C706
	global_atomic_add_f32 v6, v203, s[8:9] offset:264          // 000000011324: DD348108 0008CB06
	s_mov_b64 exec, s[36:37]                                   // 00000001132C: BEFE0124
	v_mov_b32_e32 v6, v76                                      // 000000011330: 7E0C034C
	s_mov_b64 s[60:61], 0                                      // 000000011334: BEBC0180
	v_readlane_b32 s82, v3, 24                                 // 000000011338: D2890052 00013103
	s_and_b32 s82, s82, 0xffffff                               // 000000011340: 8652FF52 00FFFFFF
	s_cmp_lt_u32 s82, s66                                      // 000000011348: BF0A4252
	s_cselect_b32 s20, s36, s60                                // 00000001134C: 85143C24
	v_readlane_b32 s82, v3, 25                                 // 000000011350: D2890052 00013303
	s_and_b32 s82, s82, 0xffffff                               // 000000011358: 8652FF52 00FFFFFF
	s_cmp_lt_u32 s82, s66                                      // 000000011360: BF0A4252
	s_cselect_b32 s21, s36, s60                                // 000000011364: 85153C24
	s_mov_b64 exec, s[20:21]                                   // 000000011368: BEFE0114
	global_atomic_add_f32 v6, v206, s[8:9] offset:8            // 00000001136C: DD348008 0008CE06
	global_atomic_add_f32 v6, v210, s[8:9] offset:264          // 000000011374: DD348108 0008D206
	s_mov_b64 exec, s[36:37]                                   // 00000001137C: BEFE0124
	v_mov_b32_e32 v6, v77                                      // 000000011380: 7E0C034D
	s_mov_b64 s[60:61], 0                                      // 000000011384: BEBC0180
	v_readlane_b32 s82, v3, 26                                 // 000000011388: D2890052 00013503
	s_and_b32 s82, s82, 0xffffff                               // 000000011390: 8652FF52 00FFFFFF
	s_cmp_lt_u32 s82, s66                                      // 000000011398: BF0A4252
	s_cselect_b32 s20, s36, s60                                // 00000001139C: 85143C24
	v_readlane_b32 s82, v3, 27                                 // 0000000113A0: D2890052 00013703
	s_and_b32 s82, s82, 0xffffff                               // 0000000113A8: 8652FF52 00FFFFFF
	s_cmp_lt_u32 s82, s66                                      // 0000000113B0: BF0A4252
	s_cselect_b32 s21, s36, s60                                // 0000000113B4: 85153C24
	s_mov_b64 exec, s[20:21]                                   // 0000000113B8: BEFE0114
	global_atomic_add_f32 v6, v207, s[8:9] offset:8            // 0000000113BC: DD348008 0008CF06
	global_atomic_add_f32 v6, v211, s[8:9] offset:264          // 0000000113C4: DD348108 0008D306
	s_mov_b64 exec, s[36:37]                                   // 0000000113CC: BEFE0124
	v_mov_b32_e32 v6, v78                                      // 0000000113D0: 7E0C034E
	s_mov_b64 s[60:61], 0                                      // 0000000113D4: BEBC0180
	v_readlane_b32 s82, v3, 28                                 // 0000000113D8: D2890052 00013903
	s_and_b32 s82, s82, 0xffffff                               // 0000000113E0: 8652FF52 00FFFFFF
	s_cmp_lt_u32 s82, s66                                      // 0000000113E8: BF0A4252
	s_cselect_b32 s20, s36, s60                                // 0000000113EC: 85143C24
	v_readlane_b32 s82, v3, 29                                 // 0000000113F0: D2890052 00013B03
	s_and_b32 s82, s82, 0xffffff                               // 0000000113F8: 8652FF52 00FFFFFF
	s_cmp_lt_u32 s82, s66                                      // 000000011400: BF0A4252
	s_cselect_b32 s21, s36, s60                                // 000000011404: 85153C24
	s_mov_b64 exec, s[20:21]                                   // 000000011408: BEFE0114
	global_atomic_add_f32 v6, v214, s[8:9] offset:8            // 00000001140C: DD348008 0008D606
	global_atomic_add_f32 v6, v218, s[8:9] offset:264          // 000000011414: DD348108 0008DA06
	s_mov_b64 exec, s[36:37]                                   // 00000001141C: BEFE0124
	v_mov_b32_e32 v6, v79                                      // 000000011420: 7E0C034F
	s_mov_b64 s[60:61], 0                                      // 000000011424: BEBC0180
	v_readlane_b32 s82, v3, 30                                 // 000000011428: D2890052 00013D03
	s_and_b32 s82, s82, 0xffffff                               // 000000011430: 8652FF52 00FFFFFF
	s_cmp_lt_u32 s82, s66                                      // 000000011438: BF0A4252
	s_cselect_b32 s20, s36, s60                                // 00000001143C: 85143C24
	v_readlane_b32 s82, v3, 31                                 // 000000011440: D2890052 00013F03
	s_and_b32 s82, s82, 0xffffff                               // 000000011448: 8652FF52 00FFFFFF
	s_cmp_lt_u32 s82, s66                                      // 000000011450: BF0A4252
	s_cselect_b32 s21, s36, s60                                // 000000011454: 85153C24
	s_mov_b64 exec, s[20:21]                                   // 000000011458: BEFE0114
	global_atomic_add_f32 v6, v215, s[8:9] offset:8            // 00000001145C: DD348008 0008D706
	global_atomic_add_f32 v6, v219, s[8:9] offset:264          // 000000011464: DD348108 0008DB06
	s_mov_b64 exec, s[36:37]                                   // 00000001146C: BEFE0124
	v_mov_b32_e32 v6, v80                                      // 000000011470: 7E0C0350
	s_mov_b64 s[60:61], 0                                      // 000000011474: BEBC0180
	v_readlane_b32 s82, v3, 32                                 // 000000011478: D2890052 00014103
	s_and_b32 s82, s82, 0xffffff                               // 000000011480: 8652FF52 00FFFFFF
	s_cmp_lt_u32 s82, s66                                      // 000000011488: BF0A4252
	s_cselect_b32 s20, s36, s60                                // 00000001148C: 85143C24
	v_readlane_b32 s82, v3, 33                                 // 000000011490: D2890052 00014303
	s_and_b32 s82, s82, 0xffffff                               // 000000011498: 8652FF52 00FFFFFF
	s_cmp_lt_u32 s82, s66                                      // 0000000114A0: BF0A4252
	s_cselect_b32 s21, s36, s60                                // 0000000114A4: 85153C24
	s_mov_b64 exec, s[20:21]                                   // 0000000114A8: BEFE0114
	global_atomic_add_f32 v6, v222, s[8:9] offset:8            // 0000000114AC: DD348008 0008DE06
	global_atomic_add_f32 v6, v226, s[8:9] offset:264          // 0000000114B4: DD348108 0008E206
	s_mov_b64 exec, s[36:37]                                   // 0000000114BC: BEFE0124
	v_mov_b32_e32 v6, v81                                      // 0000000114C0: 7E0C0351
	s_mov_b64 s[60:61], 0                                      // 0000000114C4: BEBC0180
	v_readlane_b32 s82, v3, 34                                 // 0000000114C8: D2890052 00014503
	s_and_b32 s82, s82, 0xffffff                               // 0000000114D0: 8652FF52 00FFFFFF
	s_cmp_lt_u32 s82, s66                                      // 0000000114D8: BF0A4252
	s_cselect_b32 s20, s36, s60                                // 0000000114DC: 85143C24
	v_readlane_b32 s82, v3, 35                                 // 0000000114E0: D2890052 00014703
	s_and_b32 s82, s82, 0xffffff                               // 0000000114E8: 8652FF52 00FFFFFF
	s_cmp_lt_u32 s82, s66                                      // 0000000114F0: BF0A4252
	s_cselect_b32 s21, s36, s60                                // 0000000114F4: 85153C24
	s_mov_b64 exec, s[20:21]                                   // 0000000114F8: BEFE0114
	global_atomic_add_f32 v6, v223, s[8:9] offset:8            // 0000000114FC: DD348008 0008DF06
	global_atomic_add_f32 v6, v227, s[8:9] offset:264          // 000000011504: DD348108 0008E306
	s_mov_b64 exec, s[36:37]                                   // 00000001150C: BEFE0124
	s_branch label_3AC8                                        // 000000011510: BF820000

0000000000011514 <label_3AC8>:
	s_waitcnt vmcnt(0) expcnt(0) lgkmcnt(0)                    // 000000011514: BF8C0000
	s_endpgm                                                   // 000000011518: BF810000
